;; amdgpu-corpus repo=ROCm/rocFFT kind=compiled arch=gfx1030 opt=O3
	.text
	.amdgcn_target "amdgcn-amd-amdhsa--gfx1030"
	.amdhsa_code_object_version 6
	.protected	bluestein_single_back_len1156_dim1_half_op_CI_CI ; -- Begin function bluestein_single_back_len1156_dim1_half_op_CI_CI
	.globl	bluestein_single_back_len1156_dim1_half_op_CI_CI
	.p2align	8
	.type	bluestein_single_back_len1156_dim1_half_op_CI_CI,@function
bluestein_single_back_len1156_dim1_half_op_CI_CI: ; @bluestein_single_back_len1156_dim1_half_op_CI_CI
; %bb.0:
	s_load_dwordx4 s[12:15], s[4:5], 0x28
	v_mul_u32_u24_e32 v1, 0x3c4, v0
	v_lshrrev_b32_e32 v1, 16, v1
	v_mad_u64_u32 v[16:17], null, s6, 3, v[1:2]
	v_mov_b32_e32 v17, 0
                                        ; kill: def $vgpr2 killed $sgpr0 killed $exec
	s_mov_b32 s0, exec_lo
	s_waitcnt lgkmcnt(0)
	v_cmpx_gt_u64_e64 s[12:13], v[16:17]
	s_cbranch_execz .LBB0_18
; %bb.1:
	s_clause 0x1
	s_load_dwordx4 s[8:11], s[4:5], 0x18
	s_load_dwordx4 s[0:3], s[4:5], 0x0
	v_mul_lo_u16 v1, 0x44, v1
	v_mov_b32_e32 v30, 0xb1e1
	v_mov_b32_e32 v31, 0x31e1
	;; [unrolled: 1-line block ×4, first 2 shown]
	v_sub_nc_u16 v19, v0, v1
	s_load_dwordx2 s[4:5], s[4:5], 0x38
	v_and_b32_e32 v55, 0xffff, v19
	v_lshlrev_b32_e32 v62, 2, v55
	s_waitcnt lgkmcnt(0)
	s_load_dwordx4 s[16:19], s[8:9], 0x0
	s_waitcnt lgkmcnt(0)
	v_mad_u64_u32 v[0:1], null, s18, v16, 0
	v_mad_u64_u32 v[2:3], null, s16, v55, 0
	s_mul_i32 s7, s17, 0x110
	s_mul_hi_u32 s8, s16, 0x110
	s_mul_i32 s6, s16, 0x110
	s_add_i32 s7, s8, s7
	v_add_co_u32 v59, s8, s0, v62
	v_mad_u64_u32 v[4:5], null, s19, v16, v[1:2]
	v_add_co_ci_u32_e64 v60, null, s1, 0, s8
	v_mad_u64_u32 v[5:6], null, s17, v55, v[3:4]
	v_mov_b32_e32 v1, v4
	v_lshlrev_b64 v[0:1], 2, v[0:1]
	v_mov_b32_e32 v3, v5
	v_add_co_u32 v0, vcc_lo, s14, v0
	v_lshlrev_b64 v[2:3], 2, v[2:3]
	v_add_co_ci_u32_e32 v1, vcc_lo, s15, v1, vcc_lo
	v_add_co_u32 v0, vcc_lo, v0, v2
	v_add_co_ci_u32_e32 v1, vcc_lo, v1, v3, vcc_lo
	v_add_co_u32 v2, vcc_lo, v0, s6
	;; [unrolled: 2-line block ×3, first 2 shown]
	v_add_co_ci_u32_e32 v5, vcc_lo, s7, v3, vcc_lo
	global_load_dword v56, v62, s[0:1]
	s_clause 0x2
	global_load_dword v9, v[0:1], off
	global_load_dword v8, v[2:3], off
	;; [unrolled: 1-line block ×3, first 2 shown]
	v_add_co_u32 v0, vcc_lo, v4, s6
	v_add_co_ci_u32_e32 v1, vcc_lo, s7, v5, vcc_lo
	s_clause 0x6
	global_load_dword v57, v62, s[0:1] offset:272
	global_load_dword v54, v62, s[0:1] offset:544
	;; [unrolled: 1-line block ×7, first 2 shown]
	v_add_co_u32 v2, vcc_lo, v0, s6
	v_add_co_ci_u32_e32 v3, vcc_lo, s7, v1, vcc_lo
	s_clause 0x1
	global_load_dword v15, v[0:1], off
	global_load_dword v13, v[2:3], off
	v_add_co_u32 v0, vcc_lo, v2, s6
	v_add_co_ci_u32_e32 v1, vcc_lo, s7, v3, vcc_lo
	v_add_co_u32 v2, vcc_lo, v0, s6
	v_add_co_ci_u32_e32 v3, vcc_lo, s7, v1, vcc_lo
	global_load_dword v12, v[0:1], off
	v_add_co_u32 v0, vcc_lo, v2, s6
	v_add_co_ci_u32_e32 v1, vcc_lo, s7, v3, vcc_lo
	v_add_co_u32 v4, vcc_lo, 0x800, v59
	v_add_co_ci_u32_e32 v5, vcc_lo, 0, v60, vcc_lo
	global_load_dword v20, v[2:3], off
	global_load_dword v14, v[0:1], off
	v_add_co_u32 v0, vcc_lo, v0, s6
	v_add_co_ci_u32_e32 v1, vcc_lo, s7, v1, vcc_lo
	s_clause 0x2
	global_load_dword v48, v[4:5], off offset:128
	global_load_dword v47, v[4:5], off offset:400
	;; [unrolled: 1-line block ×3, first 2 shown]
	v_add_co_u32 v2, vcc_lo, v0, s6
	v_add_co_ci_u32_e32 v3, vcc_lo, s7, v1, vcc_lo
	global_load_dword v23, v[0:1], off
	v_add_co_u32 v0, vcc_lo, v2, s6
	v_add_co_ci_u32_e32 v1, vcc_lo, s7, v3, vcc_lo
	global_load_dword v21, v[2:3], off
	;; [unrolled: 3-line block ×4, first 2 shown]
	v_add_co_u32 v2, vcc_lo, v0, s6
	v_add_co_ci_u32_e32 v3, vcc_lo, s7, v1, vcc_lo
	s_clause 0x1
	global_load_dword v45, v[4:5], off offset:944
	global_load_dword v44, v[4:5], off offset:1216
	v_add_co_u32 v10, vcc_lo, v2, s6
	v_add_co_ci_u32_e32 v11, vcc_lo, s7, v3, vcc_lo
	global_load_dword v25, v[0:1], off
	v_add_co_u32 v0, vcc_lo, v10, s6
	v_add_co_ci_u32_e32 v1, vcc_lo, s7, v11, vcc_lo
	global_load_dword v28, v[2:3], off
	s_clause 0x1
	global_load_dword v43, v[4:5], off offset:1488
	global_load_dword v41, v[4:5], off offset:1760
	global_load_dword v26, v[10:11], off
	global_load_dword v27, v[0:1], off
	v_add_co_u32 v0, vcc_lo, v0, s6
	v_add_co_ci_u32_e32 v1, vcc_lo, s7, v1, vcc_lo
	v_add_co_u32 v17, vcc_lo, 0x1000, v59
	v_add_co_ci_u32_e32 v18, vcc_lo, 0, v60, vcc_lo
	global_load_dword v29, v[0:1], off
	s_clause 0x1
	global_load_dword v40, v[4:5], off offset:2032
	global_load_dword v39, v[17:18], off offset:256
	v_mul_hi_u32 v0, 0xaaaaaaab, v16
	s_load_dwordx4 s[8:11], s[10:11], 0x0
	v_mov_b32_e32 v3, 0xbb29
	v_mov_b32_e32 v4, 0xbbf7
	;; [unrolled: 1-line block ×5, first 2 shown]
	v_cmp_gt_u16_e32 vcc_lo, 34, v19
	v_lshrrev_b32_e32 v0, 1, v0
	v_lshl_add_u32 v0, v0, 1, v0
	v_sub_nc_u32_e32 v0, v16, v0
	v_mul_u32_u24_e32 v0, 0x484, v0
	v_lshlrev_b32_e32 v58, 2, v0
	v_mov_b32_e32 v0, 0xbbb2
	v_add_nc_u32_e32 v42, v62, v58
	v_add_nc_u32_e32 v10, 0x400, v42
	;; [unrolled: 1-line block ×4, first 2 shown]
	s_waitcnt vmcnt(32)
	v_lshrrev_b32_e32 v32, 16, v9
	v_mul_f16_sdwa v33, v56, v9 dst_sel:DWORD dst_unused:UNUSED_PAD src0_sel:WORD_1 src1_sel:DWORD
	s_waitcnt vmcnt(31)
	v_lshrrev_b32_e32 v35, 16, v8
	s_waitcnt vmcnt(29)
	v_mul_f16_sdwa v36, v57, v8 dst_sel:DWORD dst_unused:UNUSED_PAD src0_sel:WORD_1 src1_sel:DWORD
	v_mul_f16_sdwa v34, v56, v32 dst_sel:DWORD dst_unused:UNUSED_PAD src0_sel:WORD_1 src1_sel:DWORD
	v_fma_f16 v32, v56, v32, -v33
	v_lshrrev_b32_e32 v33, 16, v7
	v_fmac_f16_e32 v34, v56, v9
	v_mul_f16_sdwa v9, v57, v35 dst_sel:DWORD dst_unused:UNUSED_PAD src0_sel:WORD_1 src1_sel:DWORD
	v_fma_f16 v35, v57, v35, -v36
	s_waitcnt vmcnt(28)
	v_mul_f16_sdwa v36, v54, v7 dst_sel:DWORD dst_unused:UNUSED_PAD src0_sel:WORD_1 src1_sel:DWORD
	s_waitcnt vmcnt(22)
	v_mul_f16_sdwa v37, v53, v15 dst_sel:DWORD dst_unused:UNUSED_PAD src0_sel:WORD_1 src1_sel:DWORD
	v_pack_b32_f16 v32, v34, v32
	v_fmac_f16_e32 v9, v57, v8
	v_mul_f16_sdwa v8, v54, v33 dst_sel:DWORD dst_unused:UNUSED_PAD src0_sel:WORD_1 src1_sel:DWORD
	v_lshrrev_b32_e32 v34, 16, v15
	v_fma_f16 v33, v54, v33, -v36
	s_waitcnt vmcnt(21)
	v_mul_f16_sdwa v36, v52, v13 dst_sel:DWORD dst_unused:UNUSED_PAD src0_sel:WORD_1 src1_sel:DWORD
	v_pack_b32_f16 v9, v9, v35
	v_fmac_f16_e32 v8, v54, v7
	v_mul_f16_sdwa v7, v53, v34 dst_sel:DWORD dst_unused:UNUSED_PAD src0_sel:WORD_1 src1_sel:DWORD
	v_lshrrev_b32_e32 v35, 16, v13
	v_fma_f16 v34, v53, v34, -v37
	ds_write2_b32 v42, v32, v9 offset1:68
	s_waitcnt vmcnt(20)
	v_mul_f16_sdwa v32, v51, v12 dst_sel:DWORD dst_unused:UNUSED_PAD src0_sel:WORD_1 src1_sel:DWORD
	v_fmac_f16_e32 v7, v53, v15
	v_mul_f16_sdwa v9, v52, v35 dst_sel:DWORD dst_unused:UNUSED_PAD src0_sel:WORD_1 src1_sel:DWORD
	v_lshrrev_b32_e32 v15, 16, v12
	v_pack_b32_f16 v8, v8, v33
	v_fma_f16 v33, v52, v35, -v36
	v_pack_b32_f16 v7, v7, v34
	v_fmac_f16_e32 v9, v52, v13
	v_mul_f16_sdwa v13, v51, v15 dst_sel:DWORD dst_unused:UNUSED_PAD src0_sel:WORD_1 src1_sel:DWORD
	v_fma_f16 v15, v51, v15, -v32
	s_waitcnt vmcnt(19)
	v_lshrrev_b32_e32 v32, 16, v20
	v_mul_f16_sdwa v34, v50, v20 dst_sel:DWORD dst_unused:UNUSED_PAD src0_sel:WORD_1 src1_sel:DWORD
	ds_write2_b32 v42, v8, v7 offset0:136 offset1:204
	v_pack_b32_f16 v7, v9, v33
	v_fmac_f16_e32 v13, v51, v12
	v_mul_f16_sdwa v8, v50, v32 dst_sel:DWORD dst_unused:UNUSED_PAD src0_sel:WORD_1 src1_sel:DWORD
	s_waitcnt vmcnt(18)
	v_lshrrev_b32_e32 v9, 16, v14
	v_mul_f16_sdwa v12, v49, v14 dst_sel:DWORD dst_unused:UNUSED_PAD src0_sel:WORD_1 src1_sel:DWORD
	v_fma_f16 v32, v50, v32, -v34
	v_pack_b32_f16 v13, v13, v15
	v_fmac_f16_e32 v8, v50, v20
	v_mul_f16_sdwa v15, v49, v9 dst_sel:DWORD dst_unused:UNUSED_PAD src0_sel:WORD_1 src1_sel:DWORD
	v_fma_f16 v9, v49, v9, -v12
	s_waitcnt vmcnt(14)
	v_lshrrev_b32_e32 v12, 16, v23
	v_mul_f16_sdwa v20, v48, v23 dst_sel:DWORD dst_unused:UNUSED_PAD src0_sel:WORD_1 src1_sel:DWORD
	ds_write2_b32 v10, v7, v13 offset0:16 offset1:84
	v_pack_b32_f16 v7, v8, v32
	v_fmac_f16_e32 v15, v49, v14
	v_mul_f16_sdwa v8, v48, v12 dst_sel:DWORD dst_unused:UNUSED_PAD src0_sel:WORD_1 src1_sel:DWORD
	s_waitcnt vmcnt(13)
	v_lshrrev_b32_e32 v13, 16, v21
	v_mul_f16_sdwa v14, v47, v21 dst_sel:DWORD dst_unused:UNUSED_PAD src0_sel:WORD_1 src1_sel:DWORD
	v_fma_f16 v12, v48, v12, -v20
	v_pack_b32_f16 v9, v15, v9
	v_fmac_f16_e32 v8, v48, v23
	v_mul_f16_sdwa v15, v47, v13 dst_sel:DWORD dst_unused:UNUSED_PAD src0_sel:WORD_1 src1_sel:DWORD
	v_fma_f16 v13, v47, v13, -v14
	s_waitcnt vmcnt(12)
	v_lshrrev_b32_e32 v14, 16, v22
	v_mul_f16_sdwa v20, v46, v22 dst_sel:DWORD dst_unused:UNUSED_PAD src0_sel:WORD_1 src1_sel:DWORD
	ds_write2_b32 v10, v7, v9 offset0:152 offset1:220
	v_pack_b32_f16 v7, v8, v12
	v_fmac_f16_e32 v15, v47, v21
	v_mul_f16_sdwa v8, v46, v14 dst_sel:DWORD dst_unused:UNUSED_PAD src0_sel:WORD_1 src1_sel:DWORD
	s_waitcnt vmcnt(11)
	v_lshrrev_b32_e32 v9, 16, v24
	s_waitcnt vmcnt(10)
	v_mul_f16_sdwa v12, v45, v24 dst_sel:DWORD dst_unused:UNUSED_PAD src0_sel:WORD_1 src1_sel:DWORD
	v_fma_f16 v14, v46, v14, -v20
	v_pack_b32_f16 v13, v15, v13
	v_fmac_f16_e32 v8, v46, v22
	v_mul_f16_sdwa v15, v45, v9 dst_sel:DWORD dst_unused:UNUSED_PAD src0_sel:WORD_1 src1_sel:DWORD
	v_fma_f16 v9, v45, v9, -v12
	s_waitcnt vmcnt(8)
	v_lshrrev_b32_e32 v12, 16, v25
	v_mul_f16_sdwa v20, v44, v25 dst_sel:DWORD dst_unused:UNUSED_PAD src0_sel:WORD_1 src1_sel:DWORD
	v_pack_b32_f16 v8, v8, v14
	v_fmac_f16_e32 v15, v45, v24
	s_waitcnt vmcnt(7)
	v_lshrrev_b32_e32 v14, 16, v28
	v_mul_f16_sdwa v21, v44, v12 dst_sel:DWORD dst_unused:UNUSED_PAD src0_sel:WORD_1 src1_sel:DWORD
	v_fma_f16 v12, v44, v12, -v20
	s_waitcnt vmcnt(6)
	v_mul_f16_sdwa v20, v43, v28 dst_sel:DWORD dst_unused:UNUSED_PAD src0_sel:WORD_1 src1_sel:DWORD
	v_pack_b32_f16 v9, v15, v9
	v_mul_f16_sdwa v15, v43, v14 dst_sel:DWORD dst_unused:UNUSED_PAD src0_sel:WORD_1 src1_sel:DWORD
	s_waitcnt vmcnt(4)
	v_lshrrev_b32_e32 v22, 16, v26
	s_waitcnt vmcnt(3)
	v_lshrrev_b32_e32 v23, 16, v27
	v_fma_f16 v14, v43, v14, -v20
	v_mul_f16_sdwa v20, v41, v26 dst_sel:DWORD dst_unused:UNUSED_PAD src0_sel:WORD_1 src1_sel:DWORD
	v_fmac_f16_e32 v21, v44, v25
	s_waitcnt vmcnt(2)
	v_lshrrev_b32_e32 v25, 16, v29
	v_fmac_f16_e32 v15, v43, v28
	v_mul_f16_sdwa v24, v41, v22 dst_sel:DWORD dst_unused:UNUSED_PAD src0_sel:WORD_1 src1_sel:DWORD
	v_fma_f16 v20, v41, v22, -v20
	s_waitcnt vmcnt(1)
	v_mul_f16_sdwa v22, v40, v27 dst_sel:DWORD dst_unused:UNUSED_PAD src0_sel:WORD_1 src1_sel:DWORD
	v_mul_f16_sdwa v28, v40, v23 dst_sel:DWORD dst_unused:UNUSED_PAD src0_sel:WORD_1 src1_sel:DWORD
	s_waitcnt vmcnt(0)
	v_mul_f16_sdwa v32, v39, v29 dst_sel:DWORD dst_unused:UNUSED_PAD src0_sel:WORD_1 src1_sel:DWORD
	v_mul_f16_sdwa v33, v39, v25 dst_sel:DWORD dst_unused:UNUSED_PAD src0_sel:WORD_1 src1_sel:DWORD
	v_fmac_f16_e32 v24, v41, v26
	v_fma_f16 v22, v40, v23, -v22
	v_fmac_f16_e32 v28, v40, v27
	v_fma_f16 v23, v39, v25, -v32
	v_fmac_f16_e32 v33, v39, v29
	v_pack_b32_f16 v12, v21, v12
	v_pack_b32_f16 v14, v15, v14
	;; [unrolled: 1-line block ×5, first 2 shown]
	ds_write2_b32 v6, v7, v13 offset0:32 offset1:100
	ds_write2_b32 v6, v8, v9 offset0:168 offset1:236
	;; [unrolled: 1-line block ×4, first 2 shown]
	ds_write_b32 v42, v21 offset:4352
	s_waitcnt lgkmcnt(0)
	s_barrier
	buffer_gl0_inv
	ds_read2_b32 v[86:87], v42 offset1:68
	ds_read_b32 v71, v42 offset:4352
	ds_read2_b32 v[88:89], v10 offset0:152 offset1:220
	ds_read2_b32 v[90:91], v6 offset0:168 offset1:236
	;; [unrolled: 1-line block ×7, first 2 shown]
	v_mov_b32_e32 v32, 0xb964
	v_mov_b32_e32 v24, 0x35c8
	;; [unrolled: 1-line block ×3, first 2 shown]
	v_mul_lo_u16 v7, v19, 17
	v_mov_b32_e32 v33, 0x3836
	s_waitcnt lgkmcnt(0)
	s_barrier
	buffer_gl0_inv
	v_and_b32_e32 v7, 0xffff, v7
	v_lshl_add_u32 v61, v7, 2, v58
	v_pk_add_f16 v28, v86, v87
	v_pk_add_f16 v75, v71, v87
	v_pk_add_f16 v73, v87, v71 neg_lo:[0,1] neg_hi:[0,1]
	v_pk_add_f16 v23, v95, v92
	v_pk_add_f16 v29, v97, v69
	;; [unrolled: 1-line block ×3, first 2 shown]
	v_pk_mul_f16 v107, 0x3b7639e9, v75
	v_pk_add_f16 v21, v92, v95 neg_lo:[0,1] neg_hi:[0,1]
	v_pk_add_f16 v27, v69, v97 neg_lo:[0,1] neg_hi:[0,1]
	v_lshrrev_b32_e32 v76, 16, v75
	v_pk_add_f16 v109, v109, v70
	v_mul_f16_sdwa v101, v73, v3 dst_sel:DWORD dst_unused:UNUSED_PAD src0_sel:WORD_1 src1_sel:DWORD
	v_mul_f16_e32 v79, 0xbb29, v73
	v_mul_f16_sdwa v102, v73, v4 dst_sel:DWORD dst_unused:UNUSED_PAD src0_sel:WORD_1 src1_sel:DWORD
	v_mul_f16_e32 v80, 0xbbf7, v73
	v_pk_add_f16 v92, v109, v92
	v_pk_add_f16 v26, v96, v70
	v_mul_f16_sdwa v87, v73, v1 dst_sel:DWORD dst_unused:UNUSED_PAD src0_sel:WORD_1 src1_sel:DWORD
	v_mul_f16_e32 v77, 0xb964, v73
	v_mul_f16_sdwa v103, v73, v0 dst_sel:DWORD dst_unused:UNUSED_PAD src0_sel:WORD_1 src1_sel:DWORD
	v_mul_f16_e32 v82, 0xbbb2, v73
	v_mul_f16_e32 v83, 0xba62, v73
	;; [unrolled: 1-line block ×3, first 2 shown]
	v_mul_f16_sdwa v105, v73, v2 dst_sel:DWORD dst_unused:UNUSED_PAD src0_sel:WORD_1 src1_sel:DWORD
	v_mul_f16_sdwa v106, v73, v5 dst_sel:DWORD dst_unused:UNUSED_PAD src0_sel:WORD_1 src1_sel:DWORD
	v_pk_mul_f16 v108, 0xbbdd, v75 op_sel_hi:[0,1]
	v_pk_mul_f16 v132, 0x39e92de8, v29
	v_pk_fma_f16 v165, 0xb964b5c8, v73, v107 op_sel:[0,0,1] op_sel_hi:[1,1,0] neg_lo:[0,1,0] neg_hi:[0,1,0]
	v_pk_fma_f16 v107, 0xb964b5c8, v73, v107 op_sel:[0,0,1] op_sel_hi:[1,1,0]
	v_pk_add_f16 v25, v70, v96 neg_lo:[0,1] neg_hi:[0,1]
	v_mul_f16_sdwa v110, v27, v2 dst_sel:DWORD dst_unused:UNUSED_PAD src0_sel:WORD_1 src1_sel:DWORD
	v_lshrrev_b32_e32 v111, 16, v29
	v_mul_f16_e32 v112, 0xba62, v27
	v_mul_f16_sdwa v113, v27, v30 dst_sel:DWORD dst_unused:UNUSED_PAD src0_sel:WORD_1 src1_sel:DWORD
	v_mul_f16_e32 v114, 0xb1e1, v27
	v_fma_f16 v151, v75, 0x3722, -v101
	v_fmamk_f16 v152, v76, 0x3722, v79
	v_fma_f16 v154, v75, 0x2de8, -v102
	v_fmamk_f16 v155, v76, 0x2de8, v80
	v_pk_add_f16 v92, v92, v93
	v_mul_f16_sdwa v130, v27, v32 dst_sel:DWORD dst_unused:UNUSED_PAD src0_sel:WORD_1 src1_sel:DWORD
	v_mul_f16_e32 v131, 0xbbf7, v27
	v_pk_mul_f16 v135, 0x3722b8d2, v26
	v_fma_f16 v148, v75, 0x3b76, -v87
	v_fmac_f16_e32 v87, 0x3b76, v75
	v_fmamk_f16 v149, v76, 0x39e9, v77
	v_fma_f16 v150, v76, 0x39e9, -v77
	v_fmac_f16_e32 v101, 0x3722, v75
	v_fma_f16 v153, v76, 0x3722, -v79
	v_fmac_f16_e32 v102, 0x2de8, v75
	v_fma_f16 v156, v76, 0x2de8, -v80
	v_fmamk_f16 v157, v76, 0xb461, v82
	v_fma_f16 v158, v76, 0xb461, -v82
	v_fmamk_f16 v159, v76, 0xb8d2, v83
	;; [unrolled: 2-line block ×3, first 2 shown]
	v_fma_f16 v104, v76, 0xbacd, -v104
	v_fma_f16 v162, v75, 0xb461, -v103
	v_fmac_f16_e32 v103, 0xb461, v75
	v_fma_f16 v163, v75, 0xb8d2, -v105
	v_fmac_f16_e32 v105, 0xb8d2, v75
	;; [unrolled: 2-line block ×3, first 2 shown]
	v_pk_fma_f16 v166, 0xb1e1, v73, v108 op_sel:[0,0,1] op_sel_hi:[0,1,0] neg_lo:[0,1,0] neg_hi:[0,1,0]
	v_pk_fma_f16 v108, 0xb1e1, v73, v108 op_sel:[0,0,1] op_sel_hi:[0,1,0]
	v_pk_fma_f16 v83, 0xbbf7b964, v27, v132 op_sel:[0,0,1] op_sel_hi:[1,1,0] neg_lo:[0,1,0] neg_hi:[0,1,0]
	v_pk_fma_f16 v132, 0xbbf7b964, v27, v132 op_sel:[0,0,1] op_sel_hi:[1,1,0]
	v_bfi_b32 v210, 0xffff, v107, v165
	v_pk_add_f16 v14, v91, v88
	v_pk_add_f16 v12, v88, v91 neg_lo:[0,1] neg_hi:[0,1]
	v_mul_f16_sdwa v115, v25, v31 dst_sel:DWORD dst_unused:UNUSED_PAD src0_sel:WORD_1 src1_sel:DWORD
	v_lshrrev_b32_e32 v116, 16, v26
	v_mul_f16_e32 v117, 0x31e1, v25
	v_mul_f16_sdwa v118, v25, v100 dst_sel:DWORD dst_unused:UNUSED_PAD src0_sel:WORD_1 src1_sel:DWORD
	v_mul_f16_e32 v119, 0x3bb2, v25
	v_fma_f16 v167, v29, 0xb8d2, -v110
	v_fmamk_f16 v168, v111, 0xb8d2, v112
	v_fma_f16 v169, v29, 0xbbdd, -v113
	v_fmamk_f16 v170, v111, 0xbbdd, v114
	v_add_f16_e32 v151, v86, v151
	v_add_f16_sdwa v152, v86, v152 dst_sel:DWORD dst_unused:UNUSED_PAD src0_sel:WORD_1 src1_sel:DWORD
	v_add_f16_e32 v154, v86, v154
	v_add_f16_sdwa v155, v86, v155 dst_sel:DWORD dst_unused:UNUSED_PAD src0_sel:WORD_1 src1_sel:DWORD
	v_pk_add_f16 v88, v92, v88
	v_pk_add_f16 v22, v94, v93
	v_mul_f16_sdwa v133, v25, v3 dst_sel:DWORD dst_unused:UNUSED_PAD src0_sel:WORD_1 src1_sel:DWORD
	v_mul_f16_e32 v134, 0xba62, v25
	v_pk_mul_f16 v138, 0x2de8bbdd, v23
	v_fma_f16 v194, v29, 0x39e9, -v130
	v_fmamk_f16 v195, v111, 0x2de8, v131
	v_pk_fma_f16 v82, 0xba62bb29, v25, v135 op_sel:[0,0,1] op_sel_hi:[1,1,0] neg_lo:[0,1,0] neg_hi:[0,1,0]
	v_pk_fma_f16 v135, 0xba62bb29, v25, v135 op_sel:[0,0,1] op_sel_hi:[1,1,0]
	v_add_f16_e32 v148, v86, v148
	v_add_f16_e32 v87, v86, v87
	v_add_f16_sdwa v149, v86, v149 dst_sel:DWORD dst_unused:UNUSED_PAD src0_sel:WORD_1 src1_sel:DWORD
	v_pk_add_f16 v107, v86, v107 op_sel:[1,0] op_sel_hi:[0,1]
	v_add_f16_sdwa v150, v86, v150 dst_sel:DWORD dst_unused:UNUSED_PAD src0_sel:WORD_1 src1_sel:DWORD
	v_add_f16_e32 v101, v86, v101
	v_add_f16_sdwa v153, v86, v153 dst_sel:DWORD dst_unused:UNUSED_PAD src0_sel:WORD_1 src1_sel:DWORD
	v_add_f16_e32 v102, v86, v102
	;; [unrolled: 2-line block ×8, first 2 shown]
	v_add_f16_sdwa v104, v86, v104 dst_sel:DWORD dst_unused:UNUSED_PAD src0_sel:WORD_1 src1_sel:DWORD
	v_add_f16_sdwa v165, v86, v165 dst_sel:DWORD dst_unused:UNUSED_PAD src0_sel:WORD_1 src1_sel:DWORD
	v_pk_add_f16 v73, v86, v166 op_sel:[1,0] op_sel_hi:[0,1]
	v_pk_add_f16 v70, v86, v108 op_sel:[1,0] op_sel_hi:[0,1]
	v_bfi_b32 v109, 0xffff, v132, v83
	v_pk_add_f16 v86, v86, v210 op_sel:[1,0] op_sel_hi:[0,1]
	v_pk_add_f16 v15, v93, v94 neg_lo:[0,1] neg_hi:[0,1]
	v_mul_f16_sdwa v120, v21, v100 dst_sel:DWORD dst_unused:UNUSED_PAD src0_sel:WORD_1 src1_sel:DWORD
	v_lshrrev_b32_e32 v121, 16, v23
	v_mul_f16_e32 v122, 0x3bb2, v21
	v_mul_f16_sdwa v123, v21, v24 dst_sel:DWORD dst_unused:UNUSED_PAD src0_sel:WORD_1 src1_sel:DWORD
	v_mul_f16_e32 v124, 0x35c8, v21
	v_fma_f16 v171, v26, 0xbbdd, -v115
	v_fmamk_f16 v172, v116, 0xbbdd, v117
	v_fma_f16 v173, v26, 0xb461, -v118
	v_fmamk_f16 v174, v116, 0xb461, v119
	v_fmac_f16_e32 v130, 0x39e9, v29
	v_fma_f16 v131, v111, 0x2de8, -v131
	v_fmac_f16_e32 v110, 0xb8d2, v29
	v_fma_f16 v112, v111, 0xb8d2, -v112
	v_add_f16_e32 v93, v167, v151
	v_add_f16_e32 v151, v168, v152
	;; [unrolled: 1-line block ×4, first 2 shown]
	v_pk_add_f16 v88, v88, v89
	v_mul_f16_sdwa v136, v21, v4 dst_sel:DWORD dst_unused:UNUSED_PAD src0_sel:WORD_1 src1_sel:DWORD
	v_mul_f16_e32 v137, 0xb1e1, v21
	v_pk_mul_f16 v141, 0xb461bacd, v22
	v_fma_f16 v196, v26, 0x3722, -v133
	v_fmamk_f16 v197, v116, 0xb8d2, v134
	v_pk_fma_f16 v80, 0xb1e1bbf7, v21, v138 op_sel:[0,0,1] op_sel_hi:[1,1,0] neg_lo:[0,1,0] neg_hi:[0,1,0]
	v_pk_fma_f16 v138, 0xb1e1bbf7, v21, v138 op_sel:[0,0,1] op_sel_hi:[1,1,0]
	v_bfi_b32 v166, 0xffff, v135, v82
	v_add_f16_e32 v148, v194, v148
	v_add_f16_e32 v149, v195, v149
	v_pk_add_f16 v86, v109, v86
	v_mul_f16_sdwa v125, v15, v20 dst_sel:DWORD dst_unused:UNUSED_PAD src0_sel:WORD_1 src1_sel:DWORD
	v_lshrrev_b32_e32 v126, 16, v22
	v_mul_f16_e32 v127, 0x3964, v15
	v_mul_f16_sdwa v128, v15, v3 dst_sel:DWORD dst_unused:UNUSED_PAD src0_sel:WORD_1 src1_sel:DWORD
	v_mul_f16_e32 v129, 0xbb29, v15
	v_fma_f16 v175, v23, 0xb461, -v120
	v_fmamk_f16 v176, v121, 0xb461, v122
	v_fma_f16 v177, v23, 0x3b76, -v123
	v_fmamk_f16 v178, v121, 0x3b76, v124
	v_add_f16_e32 v87, v130, v87
	v_add_f16_e32 v130, v131, v150
	v_add_f16_e32 v101, v110, v101
	v_add_f16_e32 v110, v112, v153
	v_add_f16_e32 v92, v171, v93
	v_add_f16_e32 v93, v172, v151
	v_add_f16_e32 v112, v173, v152
	v_add_f16_e32 v131, v174, v154
	v_pk_add_f16 v88, v88, v98
	v_pk_add_f16 v13, v90, v89
	v_mul_f16_sdwa v139, v15, v0 dst_sel:DWORD dst_unused:UNUSED_PAD src0_sel:WORD_1 src1_sel:DWORD
	v_mul_f16_e32 v140, 0x3836, v15
	v_pk_mul_f16 v144, 0xb8d2b461, v14
	v_fma_f16 v198, v23, 0x2de8, -v136
	v_fmamk_f16 v199, v121, 0xbbdd, v137
	v_pk_fma_f16 v79, 0x3836bbb2, v15, v141 op_sel:[0,0,1] op_sel_hi:[1,1,0] neg_lo:[0,1,0] neg_hi:[0,1,0]
	v_pk_fma_f16 v141, 0x3836bbb2, v15, v141 op_sel:[0,0,1] op_sel_hi:[1,1,0]
	v_bfi_b32 v211, 0xffff, v138, v80
	v_pk_add_f16 v107, v132, v107
	v_add_f16_e32 v109, v196, v148
	v_add_f16_e32 v132, v197, v149
	v_pk_add_f16 v86, v166, v86
	v_pk_add_f16 v8, v89, v90 neg_lo:[0,1] neg_hi:[0,1]
	v_pk_add_f16 v9, v99, v98
	v_mul_f16_sdwa v84, v12, v1 dst_sel:DWORD dst_unused:UNUSED_PAD src0_sel:WORD_1 src1_sel:DWORD
	v_lshrrev_b32_e32 v69, 16, v14
	v_mul_f16_e32 v85, 0xb5c8, v12
	v_mul_f16_sdwa v78, v12, v5 dst_sel:DWORD dst_unused:UNUSED_PAD src0_sel:WORD_1 src1_sel:DWORD
	v_mul_f16_e32 v81, 0xb836, v12
	v_fma_f16 v179, v22, 0x39e9, -v125
	v_fmamk_f16 v180, v126, 0x39e9, v127
	v_fma_f16 v181, v22, 0x3722, -v128
	v_fmamk_f16 v182, v126, 0x3722, v129
	v_add_f16_e32 v89, v175, v92
	v_add_f16_e32 v92, v176, v93
	;; [unrolled: 1-line block ×4, first 2 shown]
	v_pk_add_f16 v88, v88, v99
	v_mul_f16_sdwa v142, v12, v2 dst_sel:DWORD dst_unused:UNUSED_PAD src0_sel:WORD_1 src1_sel:DWORD
	v_mul_f16_e32 v143, 0x3bb2, v12
	v_pk_mul_f16 v145, 0xbacd3722, v13
	v_fma_f16 v200, v22, 0xb461, -v139
	v_fmamk_f16 v201, v126, 0xbacd, v140
	v_pk_fma_f16 v77, 0x3bb2ba62, v12, v144 op_sel:[0,0,1] op_sel_hi:[1,1,0] neg_lo:[0,1,0] neg_hi:[0,1,0]
	v_pk_fma_f16 v144, 0x3bb2ba62, v12, v144 op_sel:[0,0,1] op_sel_hi:[1,1,0]
	v_bfi_b32 v212, 0xffff, v141, v79
	v_add_f16_e32 v109, v198, v109
	v_add_f16_e32 v131, v199, v132
	v_pk_add_f16 v86, v211, v86
	v_pk_add_f16 v7, v98, v99 neg_lo:[0,1] neg_hi:[0,1]
	v_mul_f16_sdwa v65, v8, v4 dst_sel:DWORD dst_unused:UNUSED_PAD src0_sel:WORD_1 src1_sel:DWORD
	v_lshrrev_b32_e32 v37, 16, v13
	v_mul_f16_e32 v38, 0xbbf7, v8
	v_mul_f16_sdwa v66, v8, v68 dst_sel:DWORD dst_unused:UNUSED_PAD src0_sel:WORD_1 src1_sel:DWORD
	v_mul_f16_e32 v67, 0x3a62, v8
	v_lshrrev_b32_e32 v28, 16, v9
	v_fma_f16 v183, v14, 0x3b76, -v84
	v_fmamk_f16 v184, v69, 0x3b76, v85
	v_fma_f16 v185, v14, 0xbacd, -v78
	v_fmamk_f16 v186, v69, 0xbacd, v81
	v_add_f16_e32 v89, v179, v89
	v_add_f16_e32 v92, v180, v92
	;; [unrolled: 1-line block ×4, first 2 shown]
	v_pk_add_f16 v88, v88, v90
	v_mul_f16_sdwa v72, v8, v5 dst_sel:DWORD dst_unused:UNUSED_PAD src0_sel:WORD_1 src1_sel:DWORD
	v_mul_f16_e32 v74, 0x3b29, v8
	v_pk_mul_f16 v24, 0xbbdd3b76, v9
	v_mul_f16_sdwa v146, v27, v33 dst_sel:DWORD dst_unused:UNUSED_PAD src0_sel:WORD_1 src1_sel:DWORD
	v_fma_f16 v202, v14, 0xb8d2, -v142
	v_fmamk_f16 v203, v69, 0xb461, v143
	v_pk_fma_f16 v76, 0x3b29b836, v8, v145 op_sel:[0,0,1] op_sel_hi:[1,1,0] neg_lo:[0,1,0] neg_hi:[0,1,0]
	v_pk_fma_f16 v33, 0x3b29b836, v8, v145 op_sel:[0,0,1] op_sel_hi:[1,1,0]
	v_bfi_b32 v213, 0xffff, v144, v77
	v_add_f16_e32 v109, v200, v109
	v_add_f16_e32 v112, v201, v131
	v_pk_add_f16 v86, v212, v86
	v_mul_f16_sdwa v34, v7, v5 dst_sel:DWORD dst_unused:UNUSED_PAD src0_sel:WORD_1 src1_sel:DWORD
	v_mul_f16_sdwa v35, v7, v20 dst_sel:DWORD dst_unused:UNUSED_PAD src0_sel:WORD_1 src1_sel:DWORD
	v_mul_f16_e32 v36, 0x3964, v7
	v_fma_f16 v187, v13, 0x2de8, -v65
	v_fmamk_f16 v188, v37, 0x2de8, v38
	v_fma_f16 v189, v13, 0xb8d2, -v66
	v_fmamk_f16 v190, v37, 0xb8d2, v67
	v_mul_f16_e32 v31, 0xbacd, v28
	v_add_f16_e32 v89, v183, v89
	v_add_f16_e32 v92, v184, v92
	;; [unrolled: 1-line block ×4, first 2 shown]
	v_pk_add_f16 v88, v88, v91
	v_mul_f16_e32 v64, 0x35c8, v7
	v_mul_f16_sdwa v63, v7, v30 dst_sel:DWORD dst_unused:UNUSED_PAD src0_sel:WORD_1 src1_sel:DWORD
	v_fma_f16 v204, v13, 0xbacd, -v72
	v_fmamk_f16 v205, v37, 0x3722, v74
	v_pk_fma_f16 v75, 0x35c8b1e1, v7, v24 op_sel:[0,0,1] op_sel_hi:[1,1,0] neg_lo:[0,1,0] neg_hi:[0,1,0]
	v_pk_fma_f16 v206, 0x35c8b1e1, v7, v24 op_sel:[0,0,1] op_sel_hi:[1,1,0]
	v_bfi_b32 v214, 0xffff, v33, v76
	v_add_f16_e32 v99, v202, v109
	v_add_f16_e32 v109, v203, v112
	v_pk_add_f16 v86, v213, v86
	v_fma_f16 v191, v9, 0xbacd, -v34
	v_fma_f16 v192, v9, 0x39e9, -v35
	v_fmamk_f16 v193, v28, 0x39e9, v36
	v_fmamk_f16 v108, v7, 0xb836, v31
	v_add_f16_e32 v89, v187, v89
	v_add_f16_e32 v90, v188, v92
	;; [unrolled: 1-line block ×4, first 2 shown]
	v_pk_add_f16 v88, v88, v94
	v_fmamk_f16 v145, v28, 0x3b76, v64
	v_fma_f16 v207, v9, 0xbbdd, -v63
	v_bfi_b32 v206, 0xffff, v206, v75
	v_add_f16_e32 v98, v204, v99
	v_add_f16_e32 v99, v205, v109
	v_pk_add_f16 v86, v214, v86
	v_add_f16_e32 v89, v191, v89
	v_add_f16_e32 v91, v192, v92
	;; [unrolled: 1-line block ×4, first 2 shown]
	v_pk_add_f16 v88, v88, v95
	v_add_f16_e32 v93, v145, v99
	v_pk_add_f16 v86, v206, v86
	v_add_f16_e32 v94, v207, v98
	v_pack_b32_f16 v91, v91, v92
	v_pack_b32_f16 v89, v89, v90
	v_pk_add_f16 v88, v88, v96
	v_alignbit_b32 v90, v93, v86, 16
	v_pack_b32_f16 v86, v94, v86
	ds_write2_b32 v61, v89, v91 offset0:3 offset1:4
	ds_write2_b32 v61, v86, v90 offset0:1 offset1:2
	v_pk_add_f16 v86, v88, v97
	v_mov_b32_e32 v97, 0x3b29
	v_mul_f16_e32 v147, 0x3836, v27
	v_mul_f16_sdwa v88, v27, v100 dst_sel:DWORD dst_unused:UNUSED_PAD src0_sel:WORD_1 src1_sel:DWORD
	v_fmac_f16_e32 v113, 0xbbdd, v29
	v_fma_f16 v208, v29, 0xbacd, -v146
	v_mul_f16_sdwa v98, v27, v97 dst_sel:DWORD dst_unused:UNUSED_PAD src0_sel:WORD_1 src1_sel:DWORD
	v_fmac_f16_e32 v146, 0xbacd, v29
	v_fma_f16 v94, v111, 0xbacd, -v147
	v_fma_f16 v95, v29, 0xb461, -v88
	v_mul_f16_e32 v96, 0x3bb2, v27
	v_fma_f16 v100, v29, 0x3722, -v98
	v_fmac_f16_e32 v98, 0x3722, v29
	v_mul_f16_e32 v99, 0x3b29, v27
	v_fma_f16 v114, v111, 0xbbdd, -v114
	v_fmamk_f16 v209, v111, 0xbacd, v147
	v_add_f16_e32 v92, v113, v102
	v_add_f16_e32 v98, v98, v106
	v_mul_f16_sdwa v106, v25, v20 dst_sel:DWORD dst_unused:UNUSED_PAD src0_sel:WORD_1 src1_sel:DWORD
	v_add_f16_e32 v91, v146, v103
	v_pk_add_f16 v71, v86, v71
	v_add_f16_e32 v86, v94, v158
	v_add_f16_e32 v94, v95, v163
	v_fmamk_f16 v95, v111, 0xb461, v96
	v_fma_f16 v96, v111, 0xb461, -v96
	v_fmamk_f16 v102, v111, 0x3722, v99
	v_fma_f16 v99, v111, 0x3722, -v99
	v_fma_f16 v108, v26, 0x39e9, -v106
	v_fmac_f16_e32 v106, 0x39e9, v26
	v_mul_f16_e32 v111, 0xb5c8, v25
	v_add_f16_e32 v93, v114, v156
	v_add_f16_e32 v89, v208, v162
	v_fmac_f16_e32 v88, 0xb461, v29
	v_add_f16_e32 v95, v95, v159
	v_add_f16_e32 v99, v99, v104
	v_pk_add_f16 v104, v135, v107
	v_fma_f16 v107, v116, 0xb461, -v119
	v_mul_f16_e32 v109, 0x3964, v25
	v_add_f16_e32 v91, v106, v91
	v_fmamk_f16 v106, v116, 0x3b76, v111
	v_mul_f16_sdwa v4, v25, v4 dst_sel:DWORD dst_unused:UNUSED_PAD src0_sel:WORD_1 src1_sel:DWORD
	v_add_f16_e32 v88, v88, v105
	v_fma_f16 v103, v116, 0xb8d2, -v134
	v_fma_f16 v105, v116, 0xbbdd, -v117
	v_add_f16_e32 v93, v107, v93
	v_mul_f16_sdwa v107, v25, v1 dst_sel:DWORD dst_unused:UNUSED_PAD src0_sel:WORD_1 src1_sel:DWORD
	v_add_f16_e32 v89, v108, v89
	v_fmamk_f16 v108, v116, 0x39e9, v109
	v_fma_f16 v109, v116, 0x39e9, -v109
	v_add_f16_e32 v95, v106, v95
	v_fma_f16 v106, v26, 0x2de8, -v4
	v_fmac_f16_e32 v4, 0x2de8, v26
	v_add_f16_e32 v100, v100, v164
	v_add_f16_e32 v103, v103, v130
	;; [unrolled: 1-line block ×3, first 2 shown]
	v_fma_f16 v110, v26, 0x3b76, -v107
	v_add_f16_e32 v86, v109, v86
	v_fmac_f16_e32 v107, 0x3b76, v26
	v_mul_f16_e32 v109, 0xbbf7, v25
	v_add_f16_e32 v4, v4, v98
	v_fma_f16 v98, v121, 0xbbdd, -v137
	v_add_f16_e32 v90, v209, v157
	v_add_f16_e32 v102, v102, v161
	;; [unrolled: 1-line block ×3, first 2 shown]
	v_fmamk_f16 v107, v116, 0x2de8, v109
	v_add_f16_e32 v100, v106, v100
	v_fma_f16 v106, v116, 0x2de8, -v109
	v_add_f16_e32 v98, v98, v103
	v_fma_f16 v103, v121, 0xb461, -v122
	v_mul_f16_sdwa v3, v21, v3 dst_sel:DWORD dst_unused:UNUSED_PAD src0_sel:WORD_1 src1_sel:DWORD
	v_add_f16_e32 v96, v96, v160
	v_add_f16_e32 v90, v108, v90
	v_fma_f16 v108, v116, 0x3b76, -v111
	v_add_f16_e32 v102, v107, v102
	v_add_f16_e32 v99, v106, v99
	v_fma_f16 v106, v121, 0x3b76, -v124
	v_add_f16_e32 v103, v103, v105
	v_fma_f16 v105, v23, 0x3722, -v3
	v_mul_f16_e32 v107, 0xbb29, v21
	v_mul_f16_sdwa v5, v21, v5 dst_sel:DWORD dst_unused:UNUSED_PAD src0_sel:WORD_1 src1_sel:DWORD
	v_add_f16_e32 v94, v110, v94
	v_add_f16_e32 v96, v108, v96
	;; [unrolled: 1-line block ×4, first 2 shown]
	v_fmamk_f16 v105, v121, 0x3722, v107
	v_fmac_f16_e32 v3, 0x3722, v23
	v_fma_f16 v106, v121, 0x3722, -v107
	v_fma_f16 v107, v23, 0xbacd, -v5
	v_mul_f16_e32 v108, 0xb836, v21
	v_fmac_f16_e32 v115, 0xbbdd, v26
	v_add_f16_e32 v90, v105, v90
	v_add_f16_e32 v3, v3, v91
	;; [unrolled: 1-line block ×3, first 2 shown]
	v_fmamk_f16 v94, v121, 0xbacd, v108
	v_fmac_f16_e32 v5, 0xbacd, v23
	v_mul_f16_sdwa v68, v21, v68 dst_sel:DWORD dst_unused:UNUSED_PAD src0_sel:WORD_1 src1_sel:DWORD
	v_mul_f16_e32 v105, 0x3a62, v21
	v_add_f16_e32 v101, v115, v101
	v_fmac_f16_e32 v120, 0xb461, v23
	v_add_f16_e32 v94, v94, v95
	v_add_f16_e32 v5, v5, v88
	v_fma_f16 v88, v23, 0xb8d2, -v68
	v_fmamk_f16 v95, v121, 0xb8d2, v105
	v_fmac_f16_e32 v68, 0xb8d2, v23
	v_fma_f16 v105, v121, 0xb8d2, -v105
	v_add_f16_e32 v101, v120, v101
	v_fmac_f16_e32 v125, 0x39e9, v22
	v_add_f16_e32 v86, v106, v86
	v_add_f16_e32 v4, v68, v4
	;; [unrolled: 1-line block ×3, first 2 shown]
	v_fma_f16 v99, v126, 0xbacd, -v140
	v_fma_f16 v106, v121, 0xbacd, -v108
	v_mul_f16_e32 v108, 0x3bf7, v15
	v_fmac_f16_e32 v118, 0xb461, v26
	v_pk_add_f16 v104, v138, v104
	v_add_f16_e32 v98, v99, v98
	v_add_f16_e32 v99, v125, v101
	v_mul_f16_sdwa v101, v15, v30 dst_sel:DWORD dst_unused:UNUSED_PAD src0_sel:WORD_1 src1_sel:DWORD
	v_add_f16_e32 v96, v106, v96
	v_mul_f16_e32 v106, 0xb1e1, v15
	v_add_f16_e32 v92, v118, v92
	v_fmac_f16_e32 v123, 0x3b76, v23
	v_fma_f16 v105, v22, 0xbbdd, -v101
	v_fmac_f16_e32 v101, 0xbbdd, v22
	v_add_f16_e32 v88, v88, v100
	v_fma_f16 v100, v126, 0x39e9, -v127
	v_add_f16_e32 v92, v123, v92
	v_add_f16_e32 v89, v105, v89
	v_fmamk_f16 v105, v126, 0xbbdd, v106
	v_fma_f16 v106, v126, 0xbbdd, -v106
	v_add_f16_e32 v3, v101, v3
	v_fmamk_f16 v101, v126, 0x2de8, v108
	v_add_f16_e32 v95, v95, v102
	v_add_f16_e32 v90, v105, v90
	v_mul_f16_sdwa v105, v15, v1 dst_sel:DWORD dst_unused:UNUSED_PAD src0_sel:WORD_1 src1_sel:DWORD
	v_add_f16_e32 v86, v106, v86
	v_mul_f16_e32 v106, 0xb5c8, v15
	v_add_f16_e32 v94, v101, v94
	v_pk_add_f16 v102, v141, v104
	v_fma_f16 v101, v22, 0x3b76, -v105
	v_add_f16_e32 v100, v100, v103
	v_fmac_f16_e32 v128, 0x3722, v22
	v_fma_f16 v103, v126, 0x3722, -v129
	v_mov_b32_e32 v104, 0x3bf7
	v_add_f16_e32 v88, v101, v88
	v_fma_f16 v101, v126, 0x3b76, -v106
	v_fmac_f16_e32 v84, 0x3b76, v14
	v_fmac_f16_e32 v133, 0x3722, v26
	v_add_f16_e32 v92, v128, v92
	v_add_f16_e32 v93, v103, v93
	v_mul_f16_sdwa v103, v15, v104 dst_sel:DWORD dst_unused:UNUSED_PAD src0_sel:WORD_1 src1_sel:DWORD
	v_add_f16_e32 v68, v101, v68
	v_pk_add_f16 v101, v144, v102
	v_add_f16_e32 v84, v84, v99
	v_fma_f16 v85, v69, 0x3b76, -v85
	v_mul_f16_sdwa v99, v12, v104 dst_sel:DWORD dst_unused:UNUSED_PAD src0_sel:WORD_1 src1_sel:DWORD
	v_fmac_f16_e32 v78, 0xbacd, v14
	v_mul_f16_e32 v102, 0x3bf7, v12
	v_add_f16_e32 v87, v133, v87
	v_fmac_f16_e32 v136, 0x2de8, v23
	v_fma_f16 v107, v22, 0x2de8, -v103
	v_add_f16_e32 v85, v85, v100
	v_fma_f16 v100, v14, 0x2de8, -v99
	v_add_f16_e32 v78, v78, v92
	v_fmamk_f16 v92, v69, 0x2de8, v102
	v_mul_f16_sdwa v32, v12, v32 dst_sel:DWORD dst_unused:UNUSED_PAD src0_sel:WORD_1 src1_sel:DWORD
	v_add_f16_e32 v87, v136, v87
	v_fmac_f16_e32 v139, 0xb461, v22
	v_add_f16_e32 v91, v107, v91
	v_fmac_f16_e32 v103, 0x2de8, v22
	v_fma_f16 v81, v69, 0xbacd, -v81
	v_add_f16_e32 v89, v100, v89
	v_add_f16_e32 v90, v92, v90
	v_fma_f16 v92, v14, 0x39e9, -v32
	v_mul_f16_e32 v100, 0xb964, v12
	v_add_f16_e32 v87, v139, v87
	v_add_f16_e32 v5, v103, v5
	v_fmac_f16_e32 v142, 0xb8d2, v14
	v_fma_f16 v103, v69, 0xb461, -v143
	v_add_f16_e32 v81, v81, v93
	v_fmac_f16_e32 v99, 0x2de8, v14
	v_fma_f16 v93, v69, 0x2de8, -v102
	v_add_f16_e32 v91, v92, v91
	v_fmamk_f16 v92, v69, 0x39e9, v100
	v_mul_f16_e32 v102, 0xb1e1, v12
	v_fmac_f16_e32 v105, 0x3b76, v22
	v_add_f16_e32 v87, v142, v87
	v_add_f16_e32 v98, v103, v98
	;; [unrolled: 1-line block ×4, first 2 shown]
	v_mul_f16_sdwa v93, v12, v30 dst_sel:DWORD dst_unused:UNUSED_PAD src0_sel:WORD_1 src1_sel:DWORD
	v_fma_f16 v99, v69, 0x39e9, -v100
	v_add_f16_e32 v92, v92, v94
	v_fmamk_f16 v94, v69, 0xbbdd, v102
	v_fma_f16 v69, v69, 0xbbdd, -v102
	v_fmac_f16_e32 v72, 0xbacd, v13
	v_fma_f16 v74, v37, 0x3722, -v74
	v_add_f16_e32 v4, v105, v4
	v_fma_f16 v100, v14, 0xbbdd, -v93
	v_fmac_f16_e32 v93, 0xbbdd, v14
	v_add_f16_e32 v68, v69, v68
	v_add_f16_e32 v69, v72, v87
	;; [unrolled: 1-line block ×3, first 2 shown]
	v_mul_f16_sdwa v1, v8, v1 dst_sel:DWORD dst_unused:UNUSED_PAD src0_sel:WORD_1 src1_sel:DWORD
	v_mul_f16_e32 v74, 0xb5c8, v8
	v_add_f16_e32 v4, v93, v4
	v_add_f16_e32 v83, v83, v165
	v_fma_f16 v107, v126, 0x2de8, -v108
	v_fma_f16 v87, v13, 0x3b76, -v1
	v_fmamk_f16 v93, v37, 0x3b76, v74
	v_fmac_f16_e32 v1, 0x3b76, v13
	v_fma_f16 v74, v37, 0x3b76, -v74
	v_fmac_f16_e32 v32, 0x39e9, v14
	v_fmac_f16_e32 v65, 0x2de8, v13
	;; [unrolled: 1-line block ×3, first 2 shown]
	v_add_f16_e32 v1, v1, v3
	v_add_f16_e32 v3, v74, v86
	;; [unrolled: 1-line block ×3, first 2 shown]
	v_mul_f16_sdwa v30, v8, v30 dst_sel:DWORD dst_unused:UNUSED_PAD src0_sel:WORD_1 src1_sel:DWORD
	v_add_f16_e32 v96, v107, v96
	v_add_f16_e32 v5, v32, v5
	;; [unrolled: 1-line block ×6, first 2 shown]
	v_mul_f16_e32 v84, 0xb1e1, v8
	v_fma_f16 v87, v13, 0xbbdd, -v30
	v_fmac_f16_e32 v30, 0xbbdd, v13
	v_add_f16_e32 v74, v79, v74
	v_add_f16_e32 v32, v99, v96
	v_mul_f16_sdwa v20, v8, v20 dst_sel:DWORD dst_unused:UNUSED_PAD src0_sel:WORD_1 src1_sel:DWORD
	v_mul_f16_e32 v86, 0x3964, v8
	v_fma_f16 v80, v37, 0xbbdd, -v84
	v_add_f16_e32 v5, v30, v5
	v_add_f16_e32 v30, v77, v74
	v_fma_f16 v67, v37, 0xb8d2, -v67
	v_fmamk_f16 v89, v37, 0xbbdd, v84
	v_add_f16_e32 v82, v87, v91
	v_fma_f16 v84, v13, 0x39e9, -v20
	v_fmamk_f16 v87, v37, 0x39e9, v86
	v_add_f16_e32 v79, v80, v32
	v_fma_f16 v38, v37, 0x2de8, -v38
	v_fmac_f16_e32 v20, 0x39e9, v13
	v_fma_f16 v32, v37, 0x39e9, -v86
	v_fmac_f16_e32 v63, 0xbbdd, v9
	v_add_f16_e32 v37, v76, v30
	v_fma_f16 v64, v28, 0x3b76, -v64
	v_mul_f16_sdwa v2, v7, v2 dst_sel:DWORD dst_unused:UNUSED_PAD src0_sel:WORD_1 src1_sel:DWORD
	v_fmac_f16_e32 v35, 0x39e9, v9
	v_add_f16_e32 v4, v20, v4
	v_add_f16_e32 v20, v32, v68
	;; [unrolled: 1-line block ×5, first 2 shown]
	v_fmac_f16_e32 v34, 0xbacd, v9
	v_mul_f16_e32 v63, 0xba62, v7
	v_fma_f16 v64, v9, 0xb8d2, -v2
	v_add_f16_e32 v35, v35, v66
	v_mul_f16_sdwa v66, v7, v97 dst_sel:DWORD dst_unused:UNUSED_PAD src0_sel:WORD_1 src1_sel:DWORD
	v_fmac_f16_e32 v2, 0xb8d2, v9
	v_add_f16_e32 v67, v67, v81
	v_fma_f16 v36, v28, 0x39e9, -v36
	v_add_f16_e32 v34, v34, v65
	v_fmamk_f16 v65, v28, 0xb8d2, v63
	v_fma_f16 v63, v28, 0xb8d2, -v63
	v_fma_f16 v68, v9, 0x3722, -v66
	v_add_f16_e32 v1, v2, v1
	v_pk_mul_f16 v2, 0x3b76, v29 op_sel_hi:[0,1]
	v_add_f16_e32 v36, v36, v67
	v_mul_f16_e32 v67, 0x3b29, v7
	v_add_f16_e32 v3, v63, v3
	v_add_f16_e32 v63, v68, v82
	v_fmac_f16_e32 v66, 0x3722, v9
	v_pk_fma_f16 v68, 0x35c8, v27, v2 op_sel:[0,0,1] op_sel_hi:[0,1,0] neg_lo:[0,1,0] neg_hi:[0,1,0]
	v_pk_fma_f16 v2, 0x35c8, v27, v2 op_sel:[0,0,1] op_sel_hi:[0,1,0]
	v_pk_mul_f16 v26, 0xbacd, v26 op_sel_hi:[0,1]
	v_fmamk_f16 v29, v28, 0x3722, v67
	v_add_f16_e32 v5, v66, v5
	v_pk_add_f16 v27, v68, v73
	v_fma_f16 v66, v28, 0x3722, -v67
	v_pk_add_f16 v2, v2, v70
	v_pk_fma_f16 v67, 0xb836, v25, v26 op_sel:[0,0,1] op_sel_hi:[0,1,0] neg_lo:[0,1,0] neg_hi:[0,1,0]
	v_pk_fma_f16 v25, 0xb836, v25, v26 op_sel:[0,0,1] op_sel_hi:[0,1,0]
	v_pk_mul_f16 v23, 0x39e9, v23 op_sel_hi:[0,1]
	v_pk_mul_f16 v22, 0xb8d2, v22 op_sel_hi:[0,1]
	;; [unrolled: 1-line block ×3, first 2 shown]
	v_pk_add_f16 v27, v67, v27
	v_pk_add_f16 v2, v25, v2
	v_pk_fma_f16 v67, 0x3964, v21, v23 op_sel:[0,0,1] op_sel_hi:[0,1,0] neg_lo:[0,1,0] neg_hi:[0,1,0]
	v_pk_fma_f16 v21, 0x3964, v21, v23 op_sel:[0,0,1] op_sel_hi:[0,1,0]
	v_pk_mul_f16 v13, 0xb461, v13 op_sel_hi:[0,1]
	v_fmamk_f16 v108, v126, 0x3b76, v106
	v_add_f16_e32 v88, v100, v88
	v_pk_add_f16 v27, v67, v27
	v_pk_add_f16 v2, v21, v2
	v_pk_fma_f16 v21, 0xba62, v15, v22 op_sel:[0,0,1] op_sel_hi:[0,1,0] neg_lo:[0,1,0] neg_hi:[0,1,0]
	v_pk_fma_f16 v15, 0xba62, v15, v22 op_sel:[0,0,1] op_sel_hi:[0,1,0]
	v_add_f16_e32 v95, v108, v95
	v_mul_f16_sdwa v0, v7, v0 dst_sel:DWORD dst_unused:UNUSED_PAD src0_sel:WORD_1 src1_sel:DWORD
	v_add_f16_e32 v80, v84, v88
	v_pk_add_f16 v21, v21, v27
	v_pk_add_f16 v2, v15, v2
	v_pk_fma_f16 v15, 0x3b29, v12, v14 op_sel:[0,0,1] op_sel_hi:[0,1,0] neg_lo:[0,1,0] neg_hi:[0,1,0]
	v_pk_fma_f16 v12, 0x3b29, v12, v14 op_sel:[0,0,1] op_sel_hi:[0,1,0]
	v_add_f16_e32 v94, v94, v95
	v_add_f16_e32 v26, v66, v79
	v_fma_f16 v25, v9, 0xb461, -v0
	v_pk_add_f16 v14, v15, v21
	v_pk_fma_f16 v15, 0xbbb2, v8, v13 op_sel:[0,0,1] op_sel_hi:[0,1,0] neg_lo:[0,1,0] neg_hi:[0,1,0]
	v_pk_fma_f16 v8, 0xbbb2, v8, v13 op_sel:[0,0,1] op_sel_hi:[0,1,0]
	v_mul_f16_e32 v66, 0xbbb2, v7
	v_fmac_f16_e32 v0, 0xb461, v9
	v_pk_add_f16 v2, v12, v2
	v_pk_add_f16 v13, v15, v14
	v_mul_f16_e32 v14, 0xb836, v7
	v_pk_mul_f16 v9, 0x2de8, v9 op_sel_hi:[0,1]
	v_pk_mul_f16 v15, 0x35c8b1e1, v7
	v_add_f16_e32 v84, v87, v94
	v_add_f16_e32 v23, v25, v80
	v_bfi_b32 v14, 0xffff, v14, v101
	v_fmamk_f16 v25, v28, 0xb461, v66
	v_pk_add_f16 v2, v8, v2
	v_pack_b32_f16 v8, v38, v24
	v_pk_fma_f16 v21, 0x3bf7, v7, v9 op_sel:[0,0,1] op_sel_hi:[0,1,0] neg_lo:[0,1,0] neg_hi:[0,1,0]
	v_pk_fma_f16 v7, 0x3bf7, v7, v9 op_sel:[0,0,1] op_sel_hi:[0,1,0]
	v_bfi_b32 v9, 0xffff, v85, v15
	v_pk_add_f16 v14, v31, v14 neg_lo:[0,1] neg_hi:[0,1]
	v_pk_add_f16 v15, v33, v101
	v_add_f16_e32 v81, v93, v90
	v_add_f16_e32 v83, v89, v92
	v_add_f16_e32 v22, v25, v84
	v_fma_f16 v25, v28, 0xb461, -v66
	v_pk_add_f16 v2, v7, v2
	v_pk_add_f16 v7, v8, v9
	v_bfi_b32 v8, 0xffff, v14, v15
	v_add_f16_e32 v64, v64, v78
	v_add_f16_e32 v65, v65, v81
	;; [unrolled: 1-line block ×3, first 2 shown]
	v_pk_add_f16 v13, v21, v13
	v_add_f16_e32 v0, v0, v4
	v_add_f16_e32 v4, v25, v20
	v_pk_add_f16 v7, v8, v7
	v_pack_b32_f16 v20, v63, v29
	v_pack_b32_f16 v12, v64, v65
	v_alignbit_b32 v9, v13, v2, 16
	v_alignbit_b32 v2, v2, v13, 16
	v_pack_b32_f16 v22, v23, v22
	v_pack_b32_f16 v5, v5, v26
	;; [unrolled: 1-line block ×5, first 2 shown]
	v_alignbit_b32 v3, v37, v7, 16
	v_pack_b32_f16 v7, v34, v7
	v_pack_b32_f16 v8, v30, v32
	ds_write2_b32 v61, v12, v20 offset0:5 offset1:6
	ds_write2_b32 v61, v71, v22 offset1:7
	ds_write2_b32 v61, v2, v9 offset0:8 offset1:9
	ds_write2_b32 v61, v0, v5 offset0:10 offset1:11
	;; [unrolled: 1-line block ×4, first 2 shown]
	ds_write_b32 v61, v8 offset:64
	v_add_nc_u32_e32 v4, 0xa00, v42
	v_add_nc_u32_e32 v20, 0xe00, v42
	s_waitcnt lgkmcnt(0)
	s_barrier
	buffer_gl0_inv
	ds_read2_b32 v[2:3], v42 offset1:68
	ds_read2_b32 v[8:9], v6 offset0:66 offset1:134
	ds_read2_b32 v[0:1], v42 offset0:136 offset1:204
	;; [unrolled: 1-line block ×7, first 2 shown]
                                        ; implicit-def: $vgpr21
                                        ; implicit-def: $vgpr22
	s_and_saveexec_b32 s0, vcc_lo
	s_cbranch_execz .LBB0_3
; %bb.2:
	ds_read_b32 v30, v42 offset:2176
	ds_read_b32 v21, v42 offset:4488
	s_waitcnt lgkmcnt(1)
	v_lshrrev_b32_e32 v32, 16, v30
	s_waitcnt lgkmcnt(0)
	v_lshrrev_b32_e32 v22, 16, v21
.LBB0_3:
	s_or_b32 exec_lo, exec_lo, s0
	v_and_b32_e32 v19, 0xff, v55
	v_add_nc_u16 v26, v55, 0x44
	v_add_nc_u16 v27, v55, 0x88
	v_add_co_u32 v23, null, 0xcc, v55
	v_mul_lo_u16 v19, 0xf1, v19
	v_mov_b32_e32 v33, 0xf0f1
	v_and_b32_e32 v20, 0xff, v27
	v_add_co_u32 v24, null, 0x110, v55
	v_lshrrev_b16 v28, 12, v19
	v_and_b32_e32 v19, 0xff, v26
	v_mul_lo_u16 v20, 0xf1, v20
	v_mul_u32_u24_sdwa v35, v23, v33 dst_sel:DWORD dst_unused:UNUSED_PAD src0_sel:WORD_0 src1_sel:DWORD
	v_add_co_u32 v25, null, 0x154, v55
	v_mul_lo_u16 v19, 0xf1, v19
	v_lshrrev_b16 v38, 12, v20
	v_mul_u32_u24_sdwa v68, v24, v33 dst_sel:DWORD dst_unused:UNUSED_PAD src0_sel:WORD_0 src1_sel:DWORD
	v_add_co_u32 v29, null, 0x198, v55
	v_lshrrev_b16 v37, 12, v19
	v_add_co_u32 v19, s0, 0x220, v55
	v_add_co_u32 v34, null, 0x1dc, v55
	v_mul_lo_u16 v63, v37, 17
	v_mul_u32_u24_sdwa v67, v19, v33 dst_sel:DWORD dst_unused:UNUSED_PAD src0_sel:WORD_0 src1_sel:DWORD
	v_lshrrev_b32_e32 v35, 20, v35
	v_mul_lo_u16 v64, v38, 17
	v_mul_lo_u16 v31, v28, 17
	v_sub_nc_u16 v26, v26, v63
	v_lshrrev_b32_e32 v63, 20, v67
	v_lshrrev_b32_e32 v74, 20, v68
	v_mul_u32_u24_sdwa v69, v25, v33 dst_sel:DWORD dst_unused:UNUSED_PAD src0_sel:WORD_0 src1_sel:DWORD
	v_mul_u32_u24_sdwa v71, v29, v33 dst_sel:DWORD dst_unused:UNUSED_PAD src0_sel:WORD_0 src1_sel:DWORD
	;; [unrolled: 1-line block ×3, first 2 shown]
	v_mul_lo_u16 v66, v35, 17
	v_sub_nc_u16 v27, v27, v64
	v_mul_lo_u16 v64, v63, 17
	v_sub_nc_u16 v31, v55, v31
	v_mov_b32_e32 v36, 2
	v_mul_lo_u16 v70, v74, 17
	v_lshrrev_b32_e32 v75, 20, v69
	v_lshrrev_b32_e32 v76, 20, v71
	;; [unrolled: 1-line block ×3, first 2 shown]
	v_sub_nc_u16 v23, v23, v66
	v_sub_nc_u16 v64, v19, v64
	v_lshlrev_b32_sdwa v65, v36, v31 dst_sel:DWORD dst_unused:UNUSED_PAD src0_sel:DWORD src1_sel:BYTE_0
	v_sub_nc_u16 v24, v24, v70
	v_mul_lo_u16 v70, v75, 17
	v_mul_lo_u16 v71, v76, 17
	;; [unrolled: 1-line block ×3, first 2 shown]
	v_lshlrev_b32_sdwa v66, v36, v26 dst_sel:DWORD dst_unused:UNUSED_PAD src0_sel:DWORD src1_sel:BYTE_0
	v_lshlrev_b32_sdwa v67, v36, v27 dst_sel:DWORD dst_unused:UNUSED_PAD src0_sel:DWORD src1_sel:BYTE_0
	v_lshlrev_b32_sdwa v68, v36, v23 dst_sel:DWORD dst_unused:UNUSED_PAD src0_sel:DWORD src1_sel:WORD_0
	v_lshlrev_b32_sdwa v69, v36, v64 dst_sel:DWORD dst_unused:UNUSED_PAD src0_sel:DWORD src1_sel:WORD_0
	s_clause 0x1
	global_load_dword v72, v65, s[2:3]
	global_load_dword v73, v66, s[2:3]
	v_sub_nc_u16 v25, v25, v70
	global_load_dword v70, v67, s[2:3]
	v_sub_nc_u16 v29, v29, v71
	;; [unrolled: 2-line block ×3, first 2 shown]
	global_load_dword v65, v69, s[2:3]
	v_lshlrev_b32_sdwa v69, v36, v24 dst_sel:DWORD dst_unused:UNUSED_PAD src0_sel:DWORD src1_sel:WORD_0
	v_lshlrev_b32_sdwa v66, v36, v25 dst_sel:DWORD dst_unused:UNUSED_PAD src0_sel:DWORD src1_sel:WORD_0
	;; [unrolled: 1-line block ×4, first 2 shown]
	v_mov_b32_e32 v77, 34
	s_clause 0x3
	global_load_dword v69, v69, s[2:3]
	global_load_dword v68, v66, s[2:3]
	;; [unrolled: 1-line block ×4, first 2 shown]
	v_mad_u16 v23, v35, 34, v23
	v_mad_u16 v24, v74, 34, v24
	s_waitcnt lgkmcnt(6)
	v_lshrrev_b32_e32 v82, 16, v8
	v_mul_u32_u24_sdwa v37, v37, v77 dst_sel:DWORD dst_unused:UNUSED_PAD src0_sel:WORD_0 src1_sel:DWORD
	v_mul_u32_u24_sdwa v38, v38, v77 dst_sel:DWORD dst_unused:UNUSED_PAD src0_sel:WORD_0 src1_sel:DWORD
	v_mad_u16 v25, v75, 34, v25
	v_and_b32_e32 v23, 0xffff, v23
	v_and_b32_e32 v24, 0xffff, v24
	v_mad_u16 v28, v28, 34, v31
	v_mad_u16 v29, v76, 34, v29
	;; [unrolled: 1-line block ×3, first 2 shown]
	v_lshrrev_b32_e32 v84, 16, v9
	v_add_nc_u32_sdwa v26, v37, v26 dst_sel:DWORD dst_unused:UNUSED_PAD src0_sel:DWORD src1_sel:BYTE_0
	v_add_nc_u32_sdwa v27, v38, v27 dst_sel:DWORD dst_unused:UNUSED_PAD src0_sel:DWORD src1_sel:BYTE_0
	v_and_b32_e32 v25, 0xffff, v25
	v_lshl_add_u32 v74, v23, 2, v58
	v_lshl_add_u32 v75, v24, 2, v58
	s_waitcnt lgkmcnt(4)
	v_lshrrev_b32_e32 v86, 16, v14
	v_and_b32_e32 v28, 0xff, v28
	v_and_b32_e32 v29, 0xffff, v29
	v_lshrrev_b32_e32 v88, 16, v15
	v_and_b32_e32 v31, 0xffff, v31
	s_waitcnt lgkmcnt(2)
	v_lshrrev_b32_e32 v90, 16, v12
	v_lshrrev_b32_e32 v92, 16, v13
	;; [unrolled: 1-line block ×3, first 2 shown]
	s_waitcnt lgkmcnt(0)
	v_lshrrev_b32_e32 v93, 16, v10
	v_lshrrev_b32_e32 v96, 16, v11
	v_lshl_add_u32 v80, v26, 2, v58
	v_lshl_add_u32 v81, v27, 2, v58
	;; [unrolled: 1-line block ×6, first 2 shown]
	v_lshrrev_b32_e32 v83, 16, v3
	v_lshrrev_b32_e32 v85, 16, v0
	;; [unrolled: 1-line block ×7, first 2 shown]
	v_add_co_ci_u32_e64 v20, null, 0, 0, s0
	s_waitcnt vmcnt(0)
	s_barrier
	buffer_gl0_inv
	v_mul_f16_sdwa v23, v82, v72 dst_sel:DWORD dst_unused:UNUSED_PAD src0_sel:DWORD src1_sel:WORD_1
	v_mul_f16_sdwa v24, v8, v72 dst_sel:DWORD dst_unused:UNUSED_PAD src0_sel:DWORD src1_sel:WORD_1
	;; [unrolled: 1-line block ×5, first 2 shown]
	v_fma_f16 v8, v8, v72, -v23
	v_fmac_f16_e32 v24, v82, v72
	v_mul_f16_sdwa v25, v22, v65 dst_sel:DWORD dst_unused:UNUSED_PAD src0_sel:DWORD src1_sel:WORD_1
	v_mul_f16_sdwa v26, v21, v65 dst_sel:DWORD dst_unused:UNUSED_PAD src0_sel:DWORD src1_sel:WORD_1
	;; [unrolled: 1-line block ×13, first 2 shown]
	v_fma_f16 v21, v21, v65, -v25
	v_fmac_f16_e32 v26, v22, v65
	v_fma_f16 v9, v9, v73, -v23
	v_fmac_f16_e32 v27, v84, v73
	v_sub_f16_e32 v8, v2, v8
	v_sub_f16_e32 v22, v36, v24
	v_fma_f16 v14, v14, v70, -v28
	v_fmac_f16_e32 v29, v86, v70
	v_fma_f16 v15, v15, v71, -v31
	v_fmac_f16_e32 v33, v88, v71
	;; [unrolled: 2-line block ×6, first 2 shown]
	v_sub_f16_e32 v92, v30, v21
	v_fma_f16 v2, v2, 2.0, -v8
	v_fma_f16 v21, v36, 2.0, -v22
	v_sub_f16_e32 v9, v3, v9
	v_sub_f16_e32 v23, v83, v27
	;; [unrolled: 1-line block ×15, first 2 shown]
	v_pack_b32_f16 v8, v8, v22
	v_fma_f16 v3, v3, 2.0, -v9
	v_fma_f16 v22, v83, 2.0, -v23
	v_pack_b32_f16 v2, v2, v21
	v_fma_f16 v0, v0, 2.0, -v14
	v_fma_f16 v31, v85, 2.0, -v24
	;; [unrolled: 1-line block ×12, first 2 shown]
	v_pack_b32_f16 v9, v9, v23
	ds_write2_b32 v79, v2, v8 offset1:17
	v_pack_b32_f16 v2, v3, v22
	v_pack_b32_f16 v14, v14, v24
	v_pack_b32_f16 v0, v0, v31
	v_pack_b32_f16 v15, v15, v25
	v_pack_b32_f16 v1, v1, v33
	v_pack_b32_f16 v12, v12, v26
	v_pack_b32_f16 v3, v6, v34
	v_pack_b32_f16 v13, v13, v27
	v_pack_b32_f16 v6, v7, v35
	v_pack_b32_f16 v10, v10, v28
	v_pack_b32_f16 v11, v11, v29
	v_pack_b32_f16 v4, v4, v36
	v_pack_b32_f16 v5, v5, v37
	ds_write2_b32 v80, v2, v9 offset1:17
	ds_write2_b32 v81, v0, v14 offset1:17
	ds_write2_b32 v74, v1, v15 offset1:17
	ds_write2_b32 v75, v3, v12 offset1:17
	ds_write2_b32 v76, v6, v13 offset1:17
	ds_write2_b32 v77, v4, v10 offset1:17
	ds_write2_b32 v78, v5, v11 offset1:17
	s_and_saveexec_b32 s0, vcc_lo
	s_cbranch_execz .LBB0_5
; %bb.4:
	v_mad_u16 v0, v63, 34, v64
	v_fma_f16 v1, v30, 2.0, -v92
	v_fma_f16 v2, v32, 2.0, -v93
	v_and_b32_e32 v0, 0xffff, v0
	v_pack_b32_f16 v1, v1, v2
	v_perm_b32 v2, v93, v92, 0x5040100
	v_lshl_add_u32 v0, v0, 2, v58
	ds_write2_b32 v0, v1, v2 offset1:17
.LBB0_5:
	s_or_b32 exec_lo, exec_lo, s0
	v_add_co_u32 v21, s0, 0xffffffde, v55
	v_add_co_ci_u32_e64 v22, null, 0, -1, s0
	s_waitcnt lgkmcnt(0)
	v_cndmask_b32_e32 v23, v21, v55, vcc_lo
	s_barrier
	v_cndmask_b32_e64 v24, v22, 0, vcc_lo
	buffer_gl0_inv
	v_add_nc_u32_e32 v94, 0x400, v42
	v_add_nc_u32_e32 v28, 0x800, v42
	;; [unrolled: 1-line block ×3, first 2 shown]
	v_lshlrev_b64 v[0:1], 6, v[23:24]
	v_add_co_u32 v0, s0, s2, v0
	v_add_co_ci_u32_e64 v1, s0, s3, v1, s0
	v_cmp_lt_u16_e64 s0, 33, v55
	s_clause 0x3
	global_load_dwordx4 v[12:15], v[0:1], off offset:68
	global_load_dwordx4 v[8:11], v[0:1], off offset:84
	global_load_dwordx4 v[4:7], v[0:1], off offset:100
	global_load_dwordx4 v[0:3], v[0:1], off offset:116
	ds_read2_b32 v[24:25], v42 offset1:68
	ds_read2_b32 v[33:34], v42 offset0:136 offset1:204
	ds_read_b32 v107, v42 offset:4352
	ds_read2_b32 v[37:38], v94 offset0:16 offset1:84
	ds_read2_b32 v[90:91], v94 offset0:152 offset1:220
	;; [unrolled: 1-line block ×6, first 2 shown]
	s_waitcnt vmcnt(0) lgkmcnt(0)
	s_barrier
	buffer_gl0_inv
	v_lshrrev_b32_e32 v113, 16, v95
	v_lshrrev_b32_e32 v30, 16, v25
	;; [unrolled: 1-line block ×16, first 2 shown]
	v_mul_f16_sdwa v98, v30, v12 dst_sel:DWORD dst_unused:UNUSED_PAD src0_sel:DWORD src1_sel:WORD_1
	v_mul_f16_sdwa v104, v84, v13 dst_sel:DWORD dst_unused:UNUSED_PAD src0_sel:DWORD src1_sel:WORD_1
	;; [unrolled: 1-line block ×5, first 2 shown]
	v_fma_f16 v137, v25, v12, -v98
	v_mul_f16_sdwa v121, v25, v12 dst_sel:DWORD dst_unused:UNUSED_PAD src0_sel:DWORD src1_sel:WORD_1
	v_mul_f16_sdwa v123, v85, v14 dst_sel:DWORD dst_unused:UNUSED_PAD src0_sel:DWORD src1_sel:WORD_1
	;; [unrolled: 1-line block ×7, first 2 shown]
	v_fma_f16 v138, v33, v13, -v104
	v_fma_f16 v98, v37, v15, -v124
	;; [unrolled: 1-line block ×4, first 2 shown]
	v_add_f16_e32 v107, v24, v137
	v_mul_f16_sdwa v122, v33, v13 dst_sel:DWORD dst_unused:UNUSED_PAD src0_sel:DWORD src1_sel:WORD_1
	v_mul_f16_sdwa v26, v95, v11 dst_sel:DWORD dst_unused:UNUSED_PAD src0_sel:DWORD src1_sel:WORD_1
	;; [unrolled: 1-line block ×6, first 2 shown]
	v_fmac_f16_e32 v121, v30, v12
	v_fma_f16 v104, v34, v14, -v123
	v_fma_f16 v25, v95, v11, -v128
	;; [unrolled: 1-line block ×3, first 2 shown]
	v_add_f16_e32 v107, v107, v138
	v_mul_f16_sdwa v103, v34, v14 dst_sel:DWORD dst_unused:UNUSED_PAD src0_sel:DWORD src1_sel:WORD_1
	v_mul_f16_sdwa v125, v110, v8 dst_sel:DWORD dst_unused:UNUSED_PAD src0_sel:DWORD src1_sel:WORD_1
	;; [unrolled: 1-line block ×6, first 2 shown]
	v_fmac_f16_e32 v122, v84, v13
	v_fma_f16 v30, v96, v4, -v129
	v_fmac_f16_e32 v32, v115, v5
	v_fmac_f16_e32 v83, v117, v7
	v_fma_f16 v96, v102, v0, -v133
	v_fmac_f16_e32 v89, v108, v3
	v_add_f16_sdwa v108, v24, v121 dst_sel:DWORD dst_unused:UNUSED_PAD src0_sel:WORD_1 src1_sel:DWORD
	v_add_f16_e32 v115, v104, v95
	v_sub_f16_e32 v117, v104, v95
	v_add_f16_e32 v104, v107, v104
	v_mul_f16_sdwa v36, v100, v6 dst_sel:DWORD dst_unused:UNUSED_PAD src0_sel:DWORD src1_sel:WORD_1
	v_mul_f16_sdwa v86, v102, v0 dst_sel:DWORD dst_unused:UNUSED_PAD src0_sel:DWORD src1_sel:WORD_1
	v_fmac_f16_e32 v103, v85, v14
	v_fma_f16 v84, v38, v8, -v125
	v_fma_f16 v34, v99, v5, -v130
	;; [unrolled: 1-line block ×3, first 2 shown]
	v_fmac_f16_e32 v87, v119, v1
	v_add_f16_e32 v99, v98, v96
	v_sub_f16_e32 v101, v98, v96
	v_add_f16_e32 v108, v108, v122
	v_add_f16_e32 v98, v104, v98
	v_mul_f16_sdwa v82, v38, v8 dst_sel:DWORD dst_unused:UNUSED_PAD src0_sel:DWORD src1_sel:WORD_1
	v_mul_f16_sdwa v127, v112, v10 dst_sel:DWORD dst_unused:UNUSED_PAD src0_sel:DWORD src1_sel:WORD_1
	;; [unrolled: 1-line block ×3, first 2 shown]
	v_fmac_f16_e32 v97, v109, v15
	v_fmac_f16_e32 v36, v116, v6
	;; [unrolled: 1-line block ×3, first 2 shown]
	v_add_f16_e32 v116, v103, v87
	v_sub_f16_e32 v118, v103, v87
	v_add_f16_e32 v103, v108, v103
	v_add_f16_e32 v98, v98, v84
	v_mul_f16_sdwa v135, v120, v2 dst_sel:DWORD dst_unused:UNUSED_PAD src0_sel:DWORD src1_sel:WORD_1
	v_mul_f16_sdwa v88, v106, v2 dst_sel:DWORD dst_unused:UNUSED_PAD src0_sel:DWORD src1_sel:WORD_1
	v_fmac_f16_e32 v82, v110, v8
	v_fma_f16 v33, v91, v10, -v127
	v_fma_f16 v38, v100, v6, -v131
	v_add_f16_e32 v100, v97, v86
	v_sub_f16_e32 v102, v97, v86
	v_add_f16_e32 v97, v103, v97
	v_add_f16_e32 v98, v98, v37
	v_mul_f16_sdwa v31, v91, v10 dst_sel:DWORD dst_unused:UNUSED_PAD src0_sel:DWORD src1_sel:WORD_1
	v_fmac_f16_e32 v35, v111, v9
	v_fma_f16 v91, v106, v2, -v135
	v_fmac_f16_e32 v88, v120, v2
	v_sub_f16_e32 v109, v137, v90
	v_sub_f16_e32 v110, v121, v89
	v_add_f16_e32 v97, v97, v82
	v_add_f16_e32 v98, v98, v33
	v_fmac_f16_e32 v31, v112, v10
	v_fmac_f16_e32 v26, v113, v11
	;; [unrolled: 1-line block ×3, first 2 shown]
	v_add_f16_e32 v105, v137, v90
	v_add_f16_e32 v106, v121, v89
	;; [unrolled: 1-line block ×3, first 2 shown]
	v_sub_f16_e32 v113, v138, v91
	v_sub_f16_e32 v114, v122, v88
	v_mul_f16_e32 v119, 0xb5c8, v110
	v_mul_f16_e32 v120, 0xb5c8, v109
	;; [unrolled: 1-line block ×16, first 2 shown]
	v_add_f16_e32 v97, v97, v35
	v_add_f16_e32 v98, v98, v25
	;; [unrolled: 1-line block ×3, first 2 shown]
	v_mul_f16_e32 v133, 0xb964, v114
	v_mul_f16_e32 v134, 0xb964, v113
	;; [unrolled: 1-line block ×16, first 2 shown]
	v_fma_f16 v107, v105, 0x3b76, -v119
	v_fmamk_f16 v108, v106, 0x3b76, v120
	v_fmac_f16_e32 v119, 0x3b76, v105
	v_fma_f16 v120, v106, 0x3b76, -v120
	v_fma_f16 v169, v105, 0x39e9, -v121
	v_fmamk_f16 v170, v106, 0x39e9, v122
	v_fmac_f16_e32 v121, 0x39e9, v105
	v_fma_f16 v122, v106, 0x39e9, -v122
	;; [unrolled: 4-line block ×8, first 2 shown]
	v_add_f16_e32 v97, v97, v31
	v_add_f16_e32 v98, v98, v30
	v_mul_f16_e32 v147, 0xbb29, v118
	v_mul_f16_e32 v148, 0xbb29, v117
	;; [unrolled: 1-line block ×16, first 2 shown]
	v_fma_f16 v106, v111, 0x39e9, -v133
	v_fmac_f16_e32 v133, 0x39e9, v111
	v_fma_f16 v183, v111, 0x2de8, -v135
	v_fmac_f16_e32 v135, 0x2de8, v111
	;; [unrolled: 2-line block ×8, first 2 shown]
	v_fma_f16 v111, v112, 0x3b76, -v113
	v_add_f16_e32 v107, v24, v107
	v_add_f16_sdwa v108, v24, v108 dst_sel:DWORD dst_unused:UNUSED_PAD src0_sel:WORD_1 src1_sel:DWORD
	v_add_f16_e32 v119, v24, v119
	v_add_f16_sdwa v120, v24, v120 dst_sel:DWORD dst_unused:UNUSED_PAD src0_sel:WORD_1 src1_sel:DWORD
	;; [unrolled: 2-line block ×16, first 2 shown]
	v_add_f16_e32 v97, v97, v26
	v_add_f16_e32 v98, v98, v34
	v_fmamk_f16 v109, v112, 0x39e9, v134
	v_fma_f16 v134, v112, 0x39e9, -v134
	v_fmamk_f16 v184, v112, 0x2de8, v136
	v_fma_f16 v136, v112, 0x2de8, -v136
	;; [unrolled: 2-line block ×8, first 2 shown]
	v_fmamk_f16 v113, v116, 0x3722, v148
	v_fmac_f16_e32 v147, 0x3722, v115
	v_fma_f16 v148, v116, 0x3722, -v148
	v_fma_f16 v197, v115, 0xb8d2, -v149
	v_fmamk_f16 v198, v116, 0xb8d2, v150
	v_fmac_f16_e32 v149, 0xb8d2, v115
	v_fma_f16 v150, v116, 0xb8d2, -v150
	v_fma_f16 v199, v115, 0xbbdd, -v151
	;; [unrolled: 4-line block ×7, first 2 shown]
	v_fmac_f16_e32 v118, 0xbacd, v115
	v_fmamk_f16 v115, v116, 0xbacd, v117
	v_fma_f16 v116, v116, 0xbacd, -v117
	v_add_f16_e32 v24, v111, v24
	v_add_f16_e32 v97, v97, v29
	;; [unrolled: 1-line block ×3, first 2 shown]
	v_mul_f16_e32 v164, 0xb1e1, v101
	v_mul_f16_e32 v165, 0x3bb2, v102
	v_add_f16_e32 v116, v116, v24
	v_add_f16_e32 v97, v97, v32
	;; [unrolled: 1-line block ×8, first 2 shown]
	v_mul_f16_e32 v162, 0xbbf7, v101
	v_fmamk_f16 v212, v100, 0xbbdd, v164
	v_fma_f16 v164, v100, 0xbbdd, -v164
	v_add_f16_e32 v97, v97, v83
	v_add_f16_e32 v24, v24, v95
	v_fma_f16 v213, v99, 0xb461, -v165
	v_fmac_f16_e32 v165, 0xb461, v99
	v_add_f16_e32 v103, v106, v107
	v_add_f16_e32 v86, v97, v86
	v_add_f16_e32 v24, v24, v91
	v_add_f16_e32 v106, v134, v120
	v_add_f16_e32 v120, v185, v171
	v_add_f16_e32 v123, v138, v124
	v_add_f16_e32 v126, v140, v126
	v_add_f16_e32 v127, v141, v127
	v_add_f16_e32 v110, v114, v110
	v_add_f16_e32 v111, v150, v119
	v_add_f16_e32 v114, v151, v122
	v_add_f16_e32 v86, v86, v87
	v_add_f16_e32 v24, v24, v90
	v_mul_f16_e32 v90, 0xbb29, v102
	v_mul_f16_e32 v161, 0xbbf7, v102
	;; [unrolled: 1-line block ×4, first 2 shown]
	v_fmamk_f16 v210, v100, 0x2de8, v162
	v_fma_f16 v162, v100, 0x2de8, -v162
	v_add_f16_e32 v104, v109, v108
	v_add_f16_e32 v109, v135, v121
	;; [unrolled: 1-line block ×16, first 2 shown]
	v_fma_f16 v111, v99, 0x3722, -v90
	v_mul_f16_e32 v114, 0xb836, v102
	v_fmac_f16_e32 v90, 0x3722, v99
	v_mul_f16_e32 v166, 0x3bb2, v101
	v_mul_f16_e32 v167, 0x35c8, v102
	v_fma_f16 v117, v99, 0x2de8, -v161
	v_fma_f16 v211, v99, 0xbbdd, -v163
	v_fmac_f16_e32 v163, 0xbbdd, v99
	v_add_f16_e32 v107, v183, v169
	v_add_f16_e32 v125, v139, v125
	;; [unrolled: 1-line block ×14, first 2 shown]
	v_fmamk_f16 v89, v100, 0x3b76, v168
	v_mul_f16_e32 v112, 0xbb29, v101
	v_fma_f16 v118, v99, 0xbacd, -v114
	v_add_f16_e32 v90, v90, v126
	v_fmac_f16_e32 v114, 0xbacd, v99
	v_sub_f16_e32 v126, v82, v83
	v_fmamk_f16 v214, v100, 0xb461, v166
	v_fma_f16 v166, v100, 0xb461, -v166
	v_fma_f16 v215, v99, 0x3b76, -v167
	v_add_f16_e32 v107, v197, v107
	v_add_f16_e32 v122, v153, v125
	;; [unrolled: 1-line block ×5, first 2 shown]
	v_fmac_f16_e32 v167, 0x3b76, v99
	v_fma_f16 v109, v100, 0x3b76, -v168
	v_add_f16_e32 v89, v89, v121
	v_fmamk_f16 v117, v100, 0x3722, v112
	v_add_f16_e32 v118, v118, v128
	v_mul_f16_e32 v121, 0x3a62, v102
	v_add_f16_e32 v114, v114, v129
	v_mul_f16_e32 v102, 0x3964, v102
	;; [unrolled: 2-line block ×3, first 2 shown]
	v_sub_f16_e32 v84, v84, v85
	v_fmac_f16_e32 v161, 0x2de8, v99
	v_add_f16_e32 v108, v184, v170
	v_add_f16_e32 v124, v187, v173
	;; [unrolled: 1-line block ×9, first 2 shown]
	v_fma_f16 v112, v100, 0x3722, -v112
	v_mul_f16_e32 v119, 0xb836, v101
	v_add_f16_e32 v117, v117, v125
	v_mul_f16_e32 v122, 0x3a62, v101
	v_fma_f16 v123, v99, 0xb8d2, -v121
	v_fmac_f16_e32 v121, 0xb8d2, v99
	v_fma_f16 v125, v99, 0x39e9, -v102
	v_mul_f16_e32 v101, 0x3964, v101
	v_fmac_f16_e32 v102, 0x39e9, v99
	v_add_f16_e32 v82, v82, v83
	v_fma_f16 v83, v128, 0xb461, -v129
	v_mul_f16_e32 v99, 0xbbb2, v84
	v_add_f16_e32 v105, v147, v105
	v_add_f16_e32 v108, v198, v108
	;; [unrolled: 1-line block ×7, first 2 shown]
	v_fmamk_f16 v127, v100, 0x39e9, v101
	v_fma_f16 v85, v100, 0x39e9, -v101
	v_add_f16_e32 v101, v102, v110
	v_add_f16_e32 v83, v83, v98
	v_fmamk_f16 v98, v82, 0xb461, v99
	v_mul_f16_e32 v102, 0x3836, v126
	v_fma_f16 v99, v82, 0xb461, -v99
	v_mul_f16_e32 v110, 0x3836, v84
	v_add_f16_e32 v104, v161, v105
	v_add_f16_e32 v105, v212, v108
	;; [unrolled: 1-line block ×4, first 2 shown]
	v_fmamk_f16 v120, v100, 0xbacd, v119
	v_fma_f16 v119, v100, 0xbacd, -v119
	v_fmamk_f16 v124, v100, 0xb8d2, v122
	v_fma_f16 v122, v100, 0xb8d2, -v122
	v_add_f16_e32 v100, v127, v115
	v_add_f16_e32 v98, v98, v103
	v_fma_f16 v103, v128, 0xbacd, -v102
	v_add_f16_e32 v96, v99, v96
	v_fmamk_f16 v99, v82, 0xbacd, v110
	v_mul_f16_e32 v115, 0x3964, v126
	v_fmac_f16_e32 v102, 0xbacd, v128
	v_add_f16_e32 v97, v103, v97
	v_fma_f16 v103, v82, 0xbacd, -v110
	v_add_f16_e32 v99, v99, v105
	v_fma_f16 v105, v128, 0x39e9, -v115
	v_mul_f16_e32 v110, 0x3964, v84
	v_add_f16_e32 v87, v102, v87
	v_mul_f16_e32 v102, 0xbb29, v126
	v_add_f16_e32 v85, v85, v116
	v_add_f16_e32 v95, v103, v95
	;; [unrolled: 1-line block ×3, first 2 shown]
	v_fmamk_f16 v105, v82, 0x39e9, v110
	v_fma_f16 v106, v82, 0x39e9, -v110
	v_fma_f16 v110, v128, 0x3722, -v102
	v_mul_f16_e32 v116, 0xbb29, v84
	v_fmac_f16_e32 v115, 0x39e9, v128
	v_add_f16_e32 v88, v105, v88
	v_add_f16_e32 v105, v106, v107
	;; [unrolled: 1-line block ×3, first 2 shown]
	v_fmamk_f16 v107, v82, 0x3722, v116
	v_mul_f16_e32 v108, 0xb1e1, v126
	v_add_f16_e32 v91, v115, v91
	v_fmac_f16_e32 v102, 0x3722, v128
	v_mul_f16_e32 v115, 0xb1e1, v84
	v_add_f16_e32 v89, v107, v89
	v_fma_f16 v107, v128, 0xbbdd, -v108
	v_add_f16_e32 v130, v144, v130
	v_add_f16_e32 v138, v193, v179
	v_fma_f16 v110, v82, 0x3722, -v116
	v_add_f16_e32 v102, v102, v113
	v_mul_f16_e32 v113, 0x3bf7, v126
	v_add_f16_e32 v107, v107, v111
	v_fmac_f16_e32 v108, 0xbbdd, v128
	v_fma_f16 v111, v82, 0xbbdd, -v115
	v_add_f16_e32 v131, v145, v131
	v_add_f16_e32 v132, v146, v132
	;; [unrolled: 1-line block ×5, first 2 shown]
	v_fmamk_f16 v110, v82, 0xbbdd, v115
	v_fma_f16 v115, v128, 0x2de8, -v113
	v_mul_f16_e32 v116, 0x3bf7, v84
	v_add_f16_e32 v90, v108, v90
	v_add_f16_e32 v108, v111, v112
	v_mul_f16_e32 v111, 0xb5c8, v126
	v_add_f16_e32 v137, v192, v178
	v_add_f16_e32 v131, v159, v131
	;; [unrolled: 1-line block ×7, first 2 shown]
	v_fmamk_f16 v115, v82, 0x2de8, v116
	v_fmac_f16_e32 v113, 0x2de8, v128
	v_fma_f16 v116, v82, 0x2de8, -v116
	v_fma_f16 v117, v128, 0x3b76, -v111
	v_mul_f16_e32 v118, 0xb5c8, v84
	v_add_f16_e32 v133, v206, v137
	v_add_f16_e32 v121, v121, v131
	;; [unrolled: 1-line block ×6, first 2 shown]
	v_fmamk_f16 v117, v82, 0x3b76, v118
	v_fmac_f16_e32 v111, 0x3b76, v128
	v_fma_f16 v118, v82, 0x3b76, -v118
	v_add_f16_e32 v120, v120, v133
	v_mul_f16_e32 v119, 0xba62, v126
	v_mul_f16_e32 v84, 0xba62, v84
	v_add_f16_e32 v111, v111, v121
	v_add_f16_e32 v118, v118, v122
	v_sub_f16_e32 v121, v35, v36
	v_add_f16_e32 v122, v37, v38
	v_sub_f16_e32 v37, v37, v38
	v_add_f16_e32 v115, v115, v120
	v_fma_f16 v120, v128, 0xb8d2, -v119
	v_fmamk_f16 v123, v82, 0xb8d2, v84
	v_mul_f16_e32 v38, 0xba62, v121
	v_fmac_f16_e32 v119, 0xb8d2, v128
	v_fma_f16 v82, v82, 0xb8d2, -v84
	v_add_f16_e32 v35, v35, v36
	v_mul_f16_e32 v36, 0xba62, v37
	v_fmac_f16_e32 v129, 0xb461, v128
	v_fma_f16 v84, v122, 0xb8d2, -v38
	v_add_f16_e32 v101, v119, v101
	v_add_f16_e32 v82, v82, v85
	v_mul_f16_e32 v85, 0x3bb2, v121
	v_fmamk_f16 v119, v35, 0xb8d2, v36
	v_add_f16_e32 v104, v129, v104
	v_add_f16_e32 v83, v84, v83
	v_fmac_f16_e32 v38, 0xb8d2, v122
	v_fma_f16 v36, v35, 0xb8d2, -v36
	v_fma_f16 v84, v122, 0xb461, -v85
	v_add_f16_e32 v98, v119, v98
	v_mul_f16_e32 v119, 0x3bb2, v37
	v_add_f16_e32 v38, v38, v104
	v_add_f16_e32 v36, v36, v96
	;; [unrolled: 1-line block ×3, first 2 shown]
	v_mul_f16_e32 v96, 0xb5c8, v121
	v_fmamk_f16 v97, v35, 0xb461, v119
	v_fmac_f16_e32 v85, 0xb461, v122
	v_fma_f16 v104, v35, 0xb461, -v119
	v_mul_f16_e32 v119, 0xb5c8, v37
	v_add_f16_e32 v100, v123, v100
	v_fma_f16 v123, v122, 0x3b76, -v96
	v_add_f16_e32 v85, v85, v87
	v_add_f16_e32 v87, v104, v95
	v_fmamk_f16 v95, v35, 0x3b76, v119
	v_add_f16_e32 v97, v97, v99
	v_add_f16_e32 v99, v123, v103
	v_mul_f16_e32 v103, 0xb836, v121
	v_fmac_f16_e32 v96, 0x3b76, v122
	v_fma_f16 v104, v35, 0x3b76, -v119
	v_add_f16_e32 v88, v95, v88
	v_mul_f16_e32 v95, 0xb836, v37
	v_fma_f16 v119, v122, 0xbacd, -v103
	v_add_f16_e32 v91, v96, v91
	v_add_f16_e32 v96, v104, v105
	v_mul_f16_e32 v104, 0x3bf7, v121
	v_fmamk_f16 v105, v35, 0xbacd, v95
	v_add_f16_e32 v106, v119, v106
	v_fmac_f16_e32 v103, 0xbacd, v122
	v_fma_f16 v95, v35, 0xbacd, -v95
	v_fma_f16 v119, v122, 0x2de8, -v104
	v_add_f16_e32 v89, v105, v89
	v_mul_f16_e32 v105, 0x3bf7, v37
	v_add_f16_e32 v139, v194, v180
	v_add_f16_e32 v140, v195, v181
	;; [unrolled: 1-line block ×5, first 2 shown]
	v_mul_f16_e32 v107, 0xb964, v121
	v_fmamk_f16 v109, v35, 0x2de8, v105
	v_fmac_f16_e32 v104, 0x2de8, v122
	v_fma_f16 v105, v35, 0x2de8, -v105
	v_mul_f16_e32 v119, 0xb964, v37
	v_add_f16_e32 v135, v208, v139
	v_add_f16_e32 v136, v209, v140
	v_fma_f16 v123, v122, 0x39e9, -v107
	v_add_f16_e32 v109, v109, v110
	v_add_f16_e32 v90, v104, v90
	v_add_f16_e32 v104, v105, v108
	v_fmamk_f16 v105, v35, 0x39e9, v119
	v_mul_f16_e32 v110, 0xb1e1, v121
	v_fmac_f16_e32 v107, 0x39e9, v122
	v_add_f16_e32 v124, v124, v135
	v_add_f16_e32 v125, v125, v136
	;; [unrolled: 1-line block ×3, first 2 shown]
	v_fma_f16 v112, v35, 0x39e9, -v119
	v_add_f16_e32 v105, v105, v115
	v_mul_f16_e32 v115, 0xb1e1, v37
	v_fma_f16 v119, v122, 0xbbdd, -v110
	v_add_f16_e32 v107, v107, v113
	v_mul_f16_e32 v113, 0x3b29, v121
	v_add_f16_e32 v117, v117, v124
	v_add_f16_e32 v120, v120, v125
	;; [unrolled: 1-line block ×3, first 2 shown]
	v_fmamk_f16 v114, v35, 0xbbdd, v115
	v_add_f16_e32 v116, v119, v116
	v_fmac_f16_e32 v110, 0xbbdd, v122
	v_fma_f16 v115, v35, 0xbbdd, -v115
	v_fma_f16 v119, v122, 0x3722, -v113
	v_add_f16_e32 v114, v114, v117
	v_mul_f16_e32 v37, 0x3b29, v37
	v_add_f16_e32 v110, v110, v111
	v_add_f16_e32 v111, v115, v118
	;; [unrolled: 1-line block ×3, first 2 shown]
	v_sub_f16_e32 v117, v31, v32
	v_sub_f16_e32 v119, v33, v34
	v_fmamk_f16 v118, v35, 0x3722, v37
	v_fmac_f16_e32 v113, 0x3722, v122
	v_add_f16_e32 v33, v33, v34
	v_mul_f16_e32 v34, 0xb836, v117
	v_fma_f16 v35, v35, 0x3722, -v37
	v_add_f16_e32 v31, v31, v32
	v_mul_f16_e32 v32, 0xb836, v119
	v_add_f16_e32 v37, v118, v100
	v_fma_f16 v100, v33, 0xbacd, -v34
	v_add_f16_e32 v101, v113, v101
	v_add_f16_e32 v35, v35, v82
	v_fmamk_f16 v82, v31, 0xbacd, v32
	v_mul_f16_e32 v113, 0x3b29, v117
	v_fma_f16 v32, v31, 0xbacd, -v32
	v_add_f16_e32 v83, v100, v83
	v_fmac_f16_e32 v34, 0xbacd, v33
	v_add_f16_e32 v82, v82, v98
	v_fma_f16 v98, v33, 0x3722, -v113
	v_mul_f16_e32 v100, 0x3b29, v119
	v_add_f16_e32 v32, v32, v36
	v_mul_f16_e32 v36, 0xbbf7, v117
	v_add_f16_e32 v34, v34, v38
	v_add_f16_e32 v38, v98, v84
	v_fmamk_f16 v84, v31, 0x3722, v100
	v_fma_f16 v98, v31, 0x3722, -v100
	v_fma_f16 v100, v33, 0x2de8, -v36
	v_mul_f16_e32 v118, 0xbbf7, v119
	v_fmac_f16_e32 v113, 0x3722, v33
	v_add_f16_e32 v84, v84, v97
	v_add_f16_e32 v87, v98, v87
	;; [unrolled: 1-line block ×3, first 2 shown]
	v_fmamk_f16 v98, v31, 0x2de8, v118
	v_mul_f16_e32 v99, 0x3a62, v117
	v_add_f16_e32 v85, v113, v85
	v_fmac_f16_e32 v36, 0x2de8, v33
	v_fma_f16 v100, v31, 0x2de8, -v118
	v_mul_f16_e32 v113, 0x3a62, v119
	v_add_f16_e32 v88, v98, v88
	v_fma_f16 v98, v33, 0xb8d2, -v99
	v_add_f16_e32 v36, v36, v91
	v_add_f16_e32 v91, v100, v96
	v_fmamk_f16 v96, v31, 0xb8d2, v113
	v_mul_f16_e32 v100, 0xb5c8, v117
	v_add_f16_e32 v98, v98, v106
	v_fmac_f16_e32 v99, 0xb8d2, v33
	v_fma_f16 v106, v31, 0xb8d2, -v113
	v_add_f16_e32 v89, v96, v89
	v_fma_f16 v96, v33, 0x3b76, -v100
	v_mul_f16_e32 v113, 0xb5c8, v119
	v_add_f16_e32 v99, v99, v102
	v_add_f16_e32 v102, v106, v95
	v_mul_f16_e32 v95, 0xb1e1, v117
	v_add_f16_e32 v103, v96, v103
	v_fmamk_f16 v96, v31, 0x3b76, v113
	v_fmac_f16_e32 v100, 0x3b76, v33
	v_fma_f16 v106, v31, 0x3b76, -v113
	v_fma_f16 v113, v33, 0xbbdd, -v95
	v_mul_f16_e32 v118, 0xb1e1, v119
	v_add_f16_e32 v109, v96, v109
	v_add_f16_e32 v90, v100, v90
	;; [unrolled: 1-line block ×4, first 2 shown]
	v_fmamk_f16 v96, v31, 0xbbdd, v118
	v_mul_f16_e32 v106, 0x3964, v117
	v_fma_f16 v113, v31, 0xbbdd, -v118
	v_fmac_f16_e32 v95, 0xbbdd, v33
	v_mul_f16_e32 v108, 0x3964, v119
	v_add_f16_e32 v105, v96, v105
	v_fma_f16 v96, v33, 0x39e9, -v106
	v_add_f16_e32 v112, v113, v112
	v_mul_f16_e32 v113, 0xbbb2, v117
	v_fmac_f16_e32 v106, 0x39e9, v33
	v_add_f16_e32 v107, v95, v107
	v_fmamk_f16 v95, v31, 0x39e9, v108
	v_add_f16_e32 v116, v96, v116
	v_fma_f16 v96, v33, 0xb461, -v113
	v_add_f16_e32 v106, v106, v110
	v_sub_f16_e32 v110, v26, v29
	v_add_f16_e32 v114, v95, v114
	v_fma_f16 v95, v31, 0x39e9, -v108
	v_mul_f16_e32 v108, 0xbbb2, v119
	v_add_f16_e32 v115, v96, v115
	v_add_f16_e32 v117, v25, v30
	v_mul_f16_e32 v96, 0xb1e1, v110
	v_sub_f16_e32 v25, v25, v30
	v_add_f16_e32 v111, v95, v111
	v_fmamk_f16 v95, v31, 0xb461, v108
	v_fmac_f16_e32 v113, 0xb461, v33
	v_fma_f16 v30, v31, 0xb461, -v108
	v_add_f16_e32 v26, v26, v29
	v_fma_f16 v29, v117, 0xbbdd, -v96
	v_mul_f16_e32 v31, 0xb1e1, v25
	v_add_f16_e32 v33, v95, v37
	v_add_f16_e32 v37, v113, v101
	;; [unrolled: 1-line block ×4, first 2 shown]
	v_fmamk_f16 v35, v26, 0xbbdd, v31
	v_mul_f16_e32 v83, 0x35c8, v110
	v_fmac_f16_e32 v96, 0xbbdd, v117
	v_fma_f16 v31, v26, 0xbbdd, -v31
	v_mul_f16_e32 v101, 0x35c8, v25
	v_add_f16_e32 v35, v35, v82
	v_fma_f16 v82, v117, 0x3b76, -v83
	v_add_f16_e32 v95, v96, v34
	v_add_f16_e32 v96, v31, v32
	v_fmamk_f16 v31, v26, 0x3b76, v101
	v_mul_f16_e32 v32, 0xb836, v110
	v_fmac_f16_e32 v83, 0x3b76, v117
	v_add_f16_e32 v34, v82, v38
	v_fma_f16 v38, v26, 0x3b76, -v101
	v_add_f16_e32 v31, v31, v84
	v_fma_f16 v82, v117, 0xbacd, -v32
	v_mul_f16_e32 v84, 0xb836, v25
	v_add_f16_e32 v85, v83, v85
	v_mul_f16_e32 v83, 0x3964, v110
	v_add_f16_e32 v38, v38, v87
	v_add_f16_e32 v82, v82, v97
	v_fmamk_f16 v87, v26, 0xbacd, v84
	v_fmac_f16_e32 v32, 0xbacd, v117
	v_fma_f16 v84, v26, 0xbacd, -v84
	v_fma_f16 v97, v117, 0x39e9, -v83
	v_mul_f16_e32 v101, 0x3964, v25
	v_add_f16_e32 v87, v87, v88
	v_add_f16_e32 v32, v32, v36
	;; [unrolled: 1-line block ×4, first 2 shown]
	v_fmamk_f16 v88, v26, 0x39e9, v101
	v_mul_f16_e32 v91, 0xba62, v110
	v_fmac_f16_e32 v83, 0x39e9, v117
	v_mul_f16_e32 v98, 0xba62, v25
	v_fma_f16 v97, v26, 0x39e9, -v101
	v_add_f16_e32 v88, v88, v89
	v_fma_f16 v89, v117, 0xb8d2, -v91
	v_add_f16_e32 v99, v83, v99
	v_fmamk_f16 v83, v26, 0xb8d2, v98
	v_mul_f16_e32 v101, 0x3b29, v110
	v_add_f16_e32 v97, v97, v102
	v_add_f16_e32 v89, v89, v103
	v_fmac_f16_e32 v91, 0xb8d2, v117
	v_fma_f16 v98, v26, 0xb8d2, -v98
	v_add_f16_e32 v102, v83, v109
	v_fma_f16 v83, v117, 0x3722, -v101
	v_mul_f16_e32 v103, 0x3b29, v25
	v_add_f16_e32 v90, v91, v90
	v_add_f16_e32 v91, v98, v100
	v_mul_f16_e32 v98, 0xbbb2, v110
	v_add_f16_e32 v100, v83, v104
	v_fmamk_f16 v83, v26, 0x3722, v103
	v_fmac_f16_e32 v101, 0x3722, v117
	v_mul_f16_e32 v108, 0xbbb2, v25
	v_fma_f16 v104, v117, 0xb461, -v98
	v_fmac_f16_e32 v98, 0xb461, v117
	v_add_f16_e32 v105, v83, v105
	v_add_f16_e32 v101, v101, v107
	v_fmamk_f16 v83, v26, 0xb461, v108
	v_fma_f16 v107, v26, 0xb461, -v108
	v_mul_f16_e32 v108, 0x3bf7, v110
	v_mul_f16_e32 v25, 0x3bf7, v25
	v_cndmask_b32_e64 v110, 0, 0x242, s0
	v_add_f16_e32 v109, v83, v114
	v_add_f16_e32 v98, v98, v106
	;; [unrolled: 1-line block ×3, first 2 shown]
	v_fma_f16 v83, v117, 0x2de8, -v108
	v_fmamk_f16 v107, v26, 0x2de8, v25
	v_fmac_f16_e32 v108, 0x2de8, v117
	v_fma_f16 v25, v26, 0x2de8, -v25
	v_add_nc_u32_e32 v23, v23, v110
	v_fma_f16 v103, v26, 0x3722, -v103
	v_add_f16_e32 v104, v104, v116
	v_add_f16_e32 v26, v83, v115
	;; [unrolled: 1-line block ×5, first 2 shown]
	v_lshl_add_u32 v83, v23, 2, v58
	v_pack_b32_f16 v23, v24, v86
	v_pack_b32_f16 v24, v29, v35
	v_add_f16_e32 v103, v103, v112
	v_pack_b32_f16 v29, v34, v31
	v_pack_b32_f16 v30, v82, v87
	;; [unrolled: 1-line block ×6, first 2 shown]
	ds_write2_b32 v83, v23, v24 offset1:34
	ds_write2_b32 v83, v29, v30 offset0:68 offset1:102
	ds_write2_b32 v83, v31, v34 offset0:136 offset1:170
	ds_write2_b32 v83, v35, v82 offset0:204 offset1:238
	v_pack_b32_f16 v23, v26, v33
	v_pack_b32_f16 v24, v37, v25
	v_add_nc_u32_e32 v25, 0x400, v83
	v_pack_b32_f16 v26, v98, v106
	v_pack_b32_f16 v29, v101, v103
	;; [unrolled: 1-line block ×7, first 2 shown]
	ds_write2_b32 v25, v23, v24 offset0:16 offset1:50
	ds_write2_b32 v25, v26, v29 offset0:84 offset1:118
	;; [unrolled: 1-line block ×4, first 2 shown]
	ds_write_b32 v83, v34 offset:2176
	v_add_nc_u32_e32 v29, 0xa00, v42
	v_add_nc_u32_e32 v97, 0xe00, v42
	s_waitcnt lgkmcnt(0)
	s_barrier
	buffer_gl0_inv
	ds_read2_b32 v[25:26], v42 offset1:68
	ds_read2_b32 v[31:32], v28 offset0:66 offset1:134
	ds_read2_b32 v[23:24], v42 offset0:136 offset1:204
	;; [unrolled: 1-line block ×7, first 2 shown]
	s_and_saveexec_b32 s0, vcc_lo
	s_cbranch_execz .LBB0_7
; %bb.6:
	ds_read_b32 v95, v42 offset:2176
	ds_read_b32 v92, v42 offset:4488
	v_mov_b32_e32 v22, v20
	v_mov_b32_e32 v21, v19
	s_waitcnt lgkmcnt(1)
	v_lshrrev_b32_e32 v96, 16, v95
	s_waitcnt lgkmcnt(0)
	v_lshrrev_b32_e32 v93, 16, v92
.LBB0_7:
	s_or_b32 exec_lo, exec_lo, s0
	v_add_co_u32 v62, s0, s2, v62
	v_add_co_ci_u32_e64 v82, null, s3, 0, s0
	s_waitcnt lgkmcnt(4)
	v_lshrrev_b32_e32 v101, 16, v38
	v_add_co_u32 v19, s0, 0x800, v62
	v_add_co_ci_u32_e64 v20, s0, 0, v82, s0
	v_add_co_u32 v98, s0, 0x1000, v62
	v_add_co_ci_u32_e64 v99, s0, 0, v82, s0
	s_clause 0x6
	global_load_dword v89, v[19:20], off offset:196
	global_load_dword v86, v[19:20], off offset:468
	;; [unrolled: 1-line block ×7, first 2 shown]
	v_lshlrev_b64 v[19:20], 2, v[21:22]
	global_load_dword v90, v[98:99], off offset:52
	v_lshrrev_b32_e32 v22, 16, v32
	s_waitcnt lgkmcnt(2)
	v_lshrrev_b32_e32 v103, 16, v35
	v_lshrrev_b32_e32 v105, 16, v36
	s_waitcnt lgkmcnt(0)
	v_lshrrev_b32_e32 v107, 16, v33
	v_add_co_u32 v19, s0, s2, v19
	v_add_co_ci_u32_e64 v20, s0, s3, v20, s0
	v_lshrrev_b32_e32 v109, 16, v34
	v_add_co_u32 v19, s0, 0x800, v19
	v_add_co_ci_u32_e64 v20, s0, 0, v20, s0
	v_lshrrev_b32_e32 v21, 16, v26
	v_lshrrev_b32_e32 v100, 16, v24
	;; [unrolled: 1-line block ×3, first 2 shown]
	global_load_dword v62, v[19:20], off offset:196
	v_lshrrev_b32_e32 v20, 16, v31
	v_lshrrev_b32_e32 v99, 16, v37
	;; [unrolled: 1-line block ×7, first 2 shown]
	v_lshl_add_u32 v82, v55, 2, v58
	s_waitcnt vmcnt(8)
	v_mul_f16_sdwa v110, v20, v89 dst_sel:DWORD dst_unused:UNUSED_PAD src0_sel:DWORD src1_sel:WORD_1
	v_mul_f16_sdwa v111, v31, v89 dst_sel:DWORD dst_unused:UNUSED_PAD src0_sel:DWORD src1_sel:WORD_1
	s_waitcnt vmcnt(7)
	v_mul_f16_sdwa v112, v22, v86 dst_sel:DWORD dst_unused:UNUSED_PAD src0_sel:DWORD src1_sel:WORD_1
	v_mul_f16_sdwa v113, v32, v86 dst_sel:DWORD dst_unused:UNUSED_PAD src0_sel:DWORD src1_sel:WORD_1
	;; [unrolled: 3-line block ×8, first 2 shown]
	v_fma_f16 v31, v31, v89, -v110
	v_fmac_f16_e32 v111, v20, v89
	v_fma_f16 v20, v32, v86, -v112
	v_fmac_f16_e32 v113, v22, v86
	;; [unrolled: 2-line block ×8, first 2 shown]
	s_waitcnt vmcnt(0)
	v_mul_f16_sdwa v37, v93, v62 dst_sel:DWORD dst_unused:UNUSED_PAD src0_sel:DWORD src1_sel:WORD_1
	v_mul_f16_sdwa v38, v92, v62 dst_sel:DWORD dst_unused:UNUSED_PAD src0_sel:DWORD src1_sel:WORD_1
	v_sub_f16_e32 v31, v25, v31
	v_sub_f16_e32 v99, v19, v111
	;; [unrolled: 1-line block ×16, first 2 shown]
	v_fma_f16 v37, v92, v62, -v37
	v_fmac_f16_e32 v38, v93, v62
	v_fma_f16 v25, v25, 2.0, -v31
	v_fma_f16 v19, v19, 2.0, -v99
	;; [unrolled: 1-line block ×16, first 2 shown]
	v_pack_b32_f16 v31, v31, v99
	v_pack_b32_f16 v20, v20, v101
	;; [unrolled: 1-line block ×4, first 2 shown]
	v_sub_f16_e32 v33, v95, v37
	v_sub_f16_e32 v34, v96, v38
	v_pack_b32_f16 v19, v25, v19
	v_pack_b32_f16 v21, v26, v21
	;; [unrolled: 1-line block ×8, first 2 shown]
	ds_write_b32 v82, v31 offset:2312
	v_pack_b32_f16 v25, v29, v98
	v_pack_b32_f16 v26, v30, v100
	;; [unrolled: 1-line block ×4, first 2 shown]
	ds_write2_b32 v42, v19, v21 offset1:68
	ds_write_b32 v82, v20 offset:2584
	ds_write_b32 v42, v23 offset:544
	;; [unrolled: 1-line block ×9, first 2 shown]
	ds_write2_b32 v94, v27, v28 offset0:152 offset1:220
	ds_write2_b32 v97, v99, v101 offset0:90 offset1:158
	s_and_saveexec_b32 s0, vcc_lo
	s_cbranch_execz .LBB0_9
; %bb.8:
	v_fma_f16 v19, v95, 2.0, -v33
	v_fma_f16 v20, v96, 2.0, -v34
	v_pack_b32_f16 v19, v19, v20
	v_perm_b32 v20, v34, v33, 0x5040100
	ds_write_b32 v42, v19 offset:2176
	ds_write_b32 v82, v20 offset:4488
.LBB0_9:
	s_or_b32 exec_lo, exec_lo, s0
	s_waitcnt lgkmcnt(0)
	s_barrier
	buffer_gl0_inv
	global_load_dword v100, v[17:18], off offset:528
	v_add_co_u32 v17, s0, 0x1210, v59
	v_add_co_ci_u32_e64 v18, s0, 0, v60, s0
	v_add_co_u32 v19, s0, 0x1800, v59
	v_add_co_ci_u32_e64 v20, s0, 0, v60, s0
	s_clause 0xa
	global_load_dword v101, v[17:18], off offset:272
	global_load_dword v102, v[17:18], off offset:544
	;; [unrolled: 1-line block ×11, first 2 shown]
	v_add_co_u32 v17, s0, 0x2000, v59
	v_add_co_ci_u32_e64 v18, s0, 0, v60, s0
	s_clause 0x4
	global_load_dword v60, v[19:20], off offset:1744
	global_load_dword v113, v[19:20], off offset:2016
	;; [unrolled: 1-line block ×5, first 2 shown]
	ds_read2_b32 v[17:18], v42 offset1:68
	ds_read2_b32 v[19:20], v42 offset0:136 offset1:204
	v_add_nc_u32_e32 v25, 0x400, v42
	v_add_nc_u32_e32 v27, 0x800, v42
	;; [unrolled: 1-line block ×3, first 2 shown]
	ds_read_b32 v117, v42 offset:4352
	v_mov_b32_e32 v59, 0xb964
	ds_read2_b32 v[21:22], v25 offset0:16 offset1:84
	ds_read2_b32 v[23:24], v25 offset0:152 offset1:220
	;; [unrolled: 1-line block ×6, first 2 shown]
	v_mov_b32_e32 v31, 0x39e9
	v_mov_b32_e32 v28, 0x3722
	v_mov_b32_e32 v38, 0xbbf7
	v_mov_b32_e32 v37, 0x2de8
	v_mov_b32_e32 v32, 0xb8d2
	v_mov_b32_e32 v36, 0xb836
	v_mov_b32_e32 v112, 0xbb29
	s_waitcnt lgkmcnt(8)
	v_lshrrev_b32_e32 v118, 16, v17
	v_lshrrev_b32_e32 v119, 16, v18
	s_waitcnt lgkmcnt(7)
	v_lshrrev_b32_e32 v120, 16, v19
	v_lshrrev_b32_e32 v121, 16, v20
	v_mov_b32_e32 v29, 0xbbb2
	s_waitcnt lgkmcnt(6)
	v_lshrrev_b32_e32 v122, 16, v117
	v_mov_b32_e32 v30, 0xb461
	s_waitcnt lgkmcnt(5)
	v_lshrrev_b32_e32 v123, 16, v21
	v_lshrrev_b32_e32 v124, 16, v22
	s_waitcnt lgkmcnt(4)
	v_lshrrev_b32_e32 v125, 16, v23
	v_lshrrev_b32_e32 v126, 16, v24
	;; [unrolled: 3-line block ×6, first 2 shown]
	v_mov_b32_e32 v35, 0xba62
	s_waitcnt vmcnt(16)
	v_mul_f16_sdwa v132, v118, v100 dst_sel:DWORD dst_unused:UNUSED_PAD src0_sel:DWORD src1_sel:WORD_1
	v_mul_f16_sdwa v133, v17, v100 dst_sel:DWORD dst_unused:UNUSED_PAD src0_sel:DWORD src1_sel:WORD_1
	v_fma_f16 v17, v17, v100, -v132
	v_fmac_f16_e32 v133, v118, v100
	s_waitcnt vmcnt(15)
	v_mul_f16_sdwa v100, v119, v101 dst_sel:DWORD dst_unused:UNUSED_PAD src0_sel:DWORD src1_sel:WORD_1
	v_mul_f16_sdwa v118, v18, v101 dst_sel:DWORD dst_unused:UNUSED_PAD src0_sel:DWORD src1_sel:WORD_1
	s_waitcnt vmcnt(14)
	v_mul_f16_sdwa v132, v120, v102 dst_sel:DWORD dst_unused:UNUSED_PAD src0_sel:DWORD src1_sel:WORD_1
	v_mul_f16_sdwa v137, v19, v102 dst_sel:DWORD dst_unused:UNUSED_PAD src0_sel:DWORD src1_sel:WORD_1
	;; [unrolled: 3-line block ×16, first 2 shown]
	v_fma_f16 v18, v18, v101, -v100
	v_fmac_f16_e32 v118, v119, v101
	v_fma_f16 v19, v19, v102, -v132
	v_fmac_f16_e32 v137, v120, v102
	;; [unrolled: 2-line block ×10, first 2 shown]
	v_pack_b32_f16 v17, v17, v133
	v_fma_f16 v95, v95, v111, -v154
	v_fmac_f16_e32 v155, v130, v111
	v_fma_f16 v96, v96, v60, -v156
	v_fmac_f16_e32 v157, v131, v60
	;; [unrolled: 2-line block ×6, first 2 shown]
	v_pack_b32_f16 v18, v18, v118
	v_pack_b32_f16 v19, v19, v137
	v_pack_b32_f16 v20, v20, v139
	v_pack_b32_f16 v21, v21, v141
	v_pack_b32_f16 v22, v22, v143
	v_pack_b32_f16 v23, v23, v145
	v_pack_b32_f16 v24, v24, v147
	v_pack_b32_f16 v92, v92, v149
	v_pack_b32_f16 v93, v93, v151
	v_pack_b32_f16 v94, v94, v153
	v_pack_b32_f16 v95, v95, v155
	v_pack_b32_f16 v96, v96, v157
	v_pack_b32_f16 v60, v60, v159
	v_pack_b32_f16 v97, v97, v161
	v_pack_b32_f16 v98, v98, v163
	v_pack_b32_f16 v99, v99, v165
	ds_write2_b32 v42, v17, v18 offset1:68
	ds_write2_b32 v42, v19, v20 offset0:136 offset1:204
	ds_write2_b32 v25, v21, v22 offset0:16 offset1:84
	;; [unrolled: 1-line block ×7, first 2 shown]
	ds_write_b32 v42, v99 offset:4352
	s_waitcnt lgkmcnt(0)
	s_barrier
	buffer_gl0_inv
	ds_read2_b32 v[17:18], v42 offset1:68
	ds_read_b32 v118, v42 offset:4352
	ds_read2_b32 v[115:116], v26 offset0:184 offset1:252
	ds_read2_b32 v[93:94], v42 offset0:136 offset1:204
	;; [unrolled: 1-line block ×7, first 2 shown]
	v_mov_b32_e32 v60, 0xbacd
	v_mov_b32_e32 v106, 0xb1e1
	;; [unrolled: 1-line block ×11, first 2 shown]
	s_waitcnt lgkmcnt(0)
	s_barrier
	buffer_gl0_inv
	v_pk_add_f16 v100, v17, v18
	v_pk_add_f16 v105, v118, v18
	v_pk_add_f16 v101, v18, v118 neg_lo:[0,1] neg_hi:[0,1]
	v_pk_add_f16 v102, v116, v93
	v_pk_add_f16 v97, v93, v116 neg_lo:[0,1] neg_hi:[0,1]
	v_pk_add_f16 v93, v100, v93
	v_pk_add_f16 v96, v121, v122
	v_pk_add_f16 v18, v122, v121 neg_lo:[0,1] neg_hi:[0,1]
	v_pk_mul_f16 v100, 0xb5c8, v101 op_sel_hi:[0,1]
	v_mul_f16_sdwa v103, v101, v59 dst_sel:DWORD dst_unused:UNUSED_PAD src0_sel:WORD_1 src1_sel:DWORD
	v_pk_add_f16 v165, v93, v94
	v_mul_f16_sdwa v119, v105, v31 dst_sel:DWORD dst_unused:UNUSED_PAD src0_sel:WORD_1 src1_sel:DWORD
	v_mul_f16_sdwa v125, v105, v28 dst_sel:DWORD dst_unused:UNUSED_PAD src0_sel:WORD_1 src1_sel:DWORD
	v_pk_add_f16 v98, v115, v94
	v_pk_add_f16 v95, v94, v115 neg_lo:[0,1] neg_hi:[0,1]
	v_pk_add_f16 v122, v165, v122
	v_mul_f16_sdwa v109, v101, v38 dst_sel:DWORD dst_unused:UNUSED_PAD src0_sel:WORD_1 src1_sel:DWORD
	v_mul_f16_sdwa v126, v105, v37 dst_sel:DWORD dst_unused:UNUSED_PAD src0_sel:WORD_1 src1_sel:DWORD
	;; [unrolled: 1-line block ×4, first 2 shown]
	v_pk_add_f16 v122, v122, v123
	v_pk_mul_f16 v132, 0xb964, v97 op_sel_hi:[0,1]
	v_mul_f16_sdwa v133, v97, v38 dst_sel:DWORD dst_unused:UNUSED_PAD src0_sel:WORD_1 src1_sel:DWORD
	v_mul_f16_sdwa v134, v102, v37 dst_sel:DWORD dst_unused:UNUSED_PAD src0_sel:WORD_1 src1_sel:DWORD
	;; [unrolled: 1-line block ×3, first 2 shown]
	v_pk_add_f16 v122, v122, v21
	v_pk_fma_f16 v93, 0x3b76, v105, v100 op_sel:[0,0,1] op_sel_hi:[0,1,0]
	v_pk_fma_f16 v94, 0x3b76, v105, v100 op_sel:[0,0,1] op_sel_hi:[0,1,0] neg_lo:[0,0,1] neg_hi:[0,0,1]
	v_fmamk_f16 v166, v105, 0x39e9, v103
	v_fmamk_f16 v167, v101, 0x3964, v119
	v_pk_add_f16 v122, v122, v22
	v_fmac_f16_e32 v119, 0xb964, v101
	v_fmamk_f16 v170, v101, 0x3b29, v125
	v_mul_f16_sdwa v104, v101, v112 dst_sel:DWORD dst_unused:UNUSED_PAD src0_sel:WORD_1 src1_sel:DWORD
	v_mul_f16_sdwa v110, v101, v29 dst_sel:DWORD dst_unused:UNUSED_PAD src0_sel:WORD_1 src1_sel:DWORD
	v_pk_add_f16 v122, v122, v19
	v_mul_f16_sdwa v127, v105, v30 dst_sel:DWORD dst_unused:UNUSED_PAD src0_sel:WORD_1 src1_sel:DWORD
	v_mul_f16_sdwa v137, v97, v106 dst_sel:DWORD dst_unused:UNUSED_PAD src0_sel:WORD_1 src1_sel:DWORD
	;; [unrolled: 1-line block ×4, first 2 shown]
	v_pk_add_f16 v122, v122, v20
	v_mul_f16_sdwa v144, v102, v28 dst_sel:DWORD dst_unused:UNUSED_PAD src0_sel:WORD_1 src1_sel:DWORD
	v_pk_mul_f16 v145, 0xbb29, v95 op_sel_hi:[0,1]
	v_mul_f16_sdwa v146, v95, v35 dst_sel:DWORD dst_unused:UNUSED_PAD src0_sel:WORD_1 src1_sel:DWORD
	v_mul_f16_sdwa v147, v98, v32 dst_sel:DWORD dst_unused:UNUSED_PAD src0_sel:WORD_1 src1_sel:DWORD
	v_pk_add_f16 v122, v122, v23
	v_mul_f16_sdwa v148, v95, v99 dst_sel:DWORD dst_unused:UNUSED_PAD src0_sel:WORD_1 src1_sel:DWORD
	v_mul_f16_sdwa v149, v98, v107 dst_sel:DWORD dst_unused:UNUSED_PAD src0_sel:WORD_1 src1_sel:DWORD
	v_fma_f16 v168, v105, 0x39e9, -v103
	v_fmamk_f16 v173, v101, 0x3bf7, v126
	v_pk_add_f16 v122, v122, v24
	v_fma_f16 v174, v105, 0x2de8, -v109
	v_fmamk_f16 v180, v105, 0xbacd, v130
	v_fmamk_f16 v181, v101, 0x3836, v131
	v_fma_f16 v130, v105, 0xbacd, -v130
	v_pk_add_f16 v122, v122, v120
	v_fmac_f16_e32 v131, 0xb836, v101
	v_pk_fma_f16 v99, 0x39e9, v102, v132 op_sel:[0,0,1] op_sel_hi:[0,1,0]
	v_pk_fma_f16 v100, 0x39e9, v102, v132 op_sel:[0,0,1] op_sel_hi:[0,1,0] neg_lo:[0,0,1] neg_hi:[0,0,1]
	v_fmamk_f16 v132, v102, 0x2de8, v133
	v_fmamk_f16 v182, v97, 0x3bf7, v134
	v_fmac_f16_e32 v134, 0xbbf7, v97
	v_fmamk_f16 v184, v97, 0x3a62, v136
	v_bfi_b32 v165, 0xffff, v93, v94
	v_add_f16_e32 v166, v17, v166
	v_add_f16_sdwa v167, v17, v167 dst_sel:DWORD dst_unused:UNUSED_PAD src0_sel:WORD_1 src1_sel:DWORD
	v_add_f16_sdwa v119, v17, v119 dst_sel:DWORD dst_unused:UNUSED_PAD src0_sel:WORD_1 src1_sel:DWORD
	;; [unrolled: 1-line block ×3, first 2 shown]
	v_pk_add_f16 v121, v122, v121
	v_mul_f16_sdwa v128, v101, v35 dst_sel:DWORD dst_unused:UNUSED_PAD src0_sel:WORD_1 src1_sel:DWORD
	v_mul_f16_sdwa v135, v97, v35 dst_sel:DWORD dst_unused:UNUSED_PAD src0_sel:WORD_1 src1_sel:DWORD
	;; [unrolled: 1-line block ×10, first 2 shown]
	v_fmamk_f16 v169, v105, 0x3722, v104
	v_fma_f16 v171, v105, 0x3722, -v104
	v_fmac_f16_e32 v125, 0xbb29, v101
	v_fmac_f16_e32 v126, 0xbbf7, v101
	v_fmamk_f16 v175, v105, 0xb461, v110
	v_fmamk_f16 v176, v101, 0x3bb2, v127
	v_fma_f16 v133, v102, 0x2de8, -v133
	v_fmamk_f16 v185, v102, 0xbbdd, v137
	v_fmamk_f16 v186, v97, 0x31e1, v138
	v_fma_f16 v137, v102, 0xbbdd, -v137
	;; [unrolled: 3-line block ×3, first 2 shown]
	v_fmac_f16_e32 v144, 0x3b29, v97
	v_pk_fma_f16 v103, 0x3722, v98, v145 op_sel:[0,0,1] op_sel_hi:[0,1,0]
	v_pk_fma_f16 v104, 0x3722, v98, v145 op_sel:[0,0,1] op_sel_hi:[0,1,0] neg_lo:[0,0,1] neg_hi:[0,0,1]
	v_fmamk_f16 v145, v98, 0xb8d2, v146
	v_fmamk_f16 v193, v95, 0x3a62, v147
	v_fmac_f16_e32 v147, 0xba62, v95
	v_fmamk_f16 v195, v95, 0xb1e1, v149
	v_add_f16_e32 v168, v17, v168
	v_add_f16_sdwa v173, v17, v173 dst_sel:DWORD dst_unused:UNUSED_PAD src0_sel:WORD_1 src1_sel:DWORD
	v_add_f16_e32 v174, v17, v174
	v_add_f16_e32 v130, v17, v130
	v_add_f16_sdwa v131, v17, v131 dst_sel:DWORD dst_unused:UNUSED_PAD src0_sel:WORD_1 src1_sel:DWORD
	v_bfi_b32 v208, 0xffff, v99, v100
	v_pk_add_f16 v165, v17, v165
	v_add_f16_e32 v132, v132, v166
	v_add_f16_e32 v166, v182, v167
	;; [unrolled: 1-line block ×4, first 2 shown]
	v_pk_add_f16 v115, v121, v115
	v_mul_f16_sdwa v129, v105, v32 dst_sel:DWORD dst_unused:UNUSED_PAD src0_sel:WORD_1 src1_sel:DWORD
	v_mul_f16_sdwa v141, v97, v117 dst_sel:DWORD dst_unused:UNUSED_PAD src0_sel:WORD_1 src1_sel:DWORD
	;; [unrolled: 1-line block ×6, first 2 shown]
	v_fmac_f16_e32 v127, 0xbbb2, v101
	v_fmamk_f16 v178, v105, 0xb8d2, v128
	v_fmamk_f16 v183, v102, 0xb8d2, v135
	v_fmac_f16_e32 v136, 0xba62, v97
	v_fmac_f16_e32 v138, 0xb1e1, v97
	v_fmamk_f16 v187, v102, 0xbacd, v139
	v_fmamk_f16 v188, v97, 0xb836, v140
	v_fma_f16 v146, v98, 0xb8d2, -v146
	v_fmamk_f16 v196, v98, 0xb461, v150
	v_fmamk_f16 v197, v95, 0xbbb2, v151
	v_fma_f16 v150, v98, 0xb461, -v150
	;; [unrolled: 3-line block ×3, first 2 shown]
	v_fmac_f16_e32 v157, 0xbbf7, v95
	v_fmamk_f16 v204, v18, 0x31e1, v160
	v_fmac_f16_e32 v160, 0xb1e1, v18
	v_fmamk_f16 v206, v18, 0xbbb2, v162
	v_add_f16_e32 v169, v17, v169
	v_add_f16_sdwa v125, v17, v125 dst_sel:DWORD dst_unused:UNUSED_PAD src0_sel:WORD_1 src1_sel:DWORD
	v_add_f16_sdwa v126, v17, v126 dst_sel:DWORD dst_unused:UNUSED_PAD src0_sel:WORD_1 src1_sel:DWORD
	v_add_f16_e32 v175, v17, v175
	v_add_f16_sdwa v176, v17, v176 dst_sel:DWORD dst_unused:UNUSED_PAD src0_sel:WORD_1 src1_sel:DWORD
	v_bfi_b32 v209, 0xffff, v103, v104
	v_add_f16_e32 v133, v133, v168
	v_add_f16_e32 v168, v186, v173
	;; [unrolled: 1-line block ×5, first 2 shown]
	v_pk_add_f16 v143, v208, v165
	v_add_f16_e32 v132, v145, v132
	v_add_f16_e32 v144, v193, v166
	v_add_f16_e32 v119, v147, v119
	v_add_f16_e32 v145, v195, v167
	v_pk_add_f16 v115, v115, v116
	v_mul_f16_sdwa v142, v102, v30 dst_sel:DWORD dst_unused:UNUSED_PAD src0_sel:WORD_1 src1_sel:DWORD
	v_mul_f16_sdwa v154, v95, v114 dst_sel:DWORD dst_unused:UNUSED_PAD src0_sel:WORD_1 src1_sel:DWORD
	v_fma_f16 v177, v105, 0xb461, -v110
	v_fmamk_f16 v179, v101, 0x3a62, v129
	v_fmac_f16_e32 v140, 0x3836, v97
	v_fmamk_f16 v189, v102, 0xb461, v141
	v_fmac_f16_e32 v149, 0x31e1, v95
	v_fmamk_f16 v198, v98, 0x39e9, v152
	v_fmamk_f16 v199, v95, 0xb964, v153
	v_add_f16_sdwa v127, v17, v127 dst_sel:DWORD dst_unused:UNUSED_PAD src0_sel:WORD_1 src1_sel:DWORD
	v_add_f16_e32 v178, v17, v178
	v_add_f16_e32 v134, v183, v169
	;; [unrolled: 1-line block ×11, first 2 shown]
	v_pk_add_f16 v131, v209, v143
	v_add_f16_e32 v121, v204, v144
	v_add_f16_e32 v143, v160, v119
	;; [unrolled: 1-line block ×3, first 2 shown]
	v_pk_add_f16 v118, v115, v118
	v_mul_f16_sdwa v115, v18, v112 dst_sel:DWORD dst_unused:UNUSED_PAD src0_sel:WORD_1 src1_sel:DWORD
	v_fmamk_f16 v116, v18, 0xb5c8, v164
	v_mul_f16_sdwa v119, v96, v28 dst_sel:DWORD dst_unused:UNUSED_PAD src0_sel:WORD_1 src1_sel:DWORD
	v_fma_f16 v145, v96, 0x3b76, -v163
	v_mul_f16_sdwa v155, v98, v111 dst_sel:DWORD dst_unused:UNUSED_PAD src0_sel:WORD_1 src1_sel:DWORD
	v_fma_f16 v128, v105, 0xb8d2, -v128
	v_fmac_f16_e32 v129, 0xba62, v101
	v_fma_f16 v135, v102, 0xb8d2, -v135
	v_fma_f16 v139, v102, 0xbacd, -v139
	v_fmamk_f16 v190, v97, 0xbbb2, v142
	v_fmac_f16_e32 v153, 0x3964, v95
	v_fmamk_f16 v200, v98, 0x3b76, v154
	v_add_f16_e32 v171, v17, v171
	v_add_f16_e32 v177, v17, v177
	v_add_f16_sdwa v179, v17, v179 dst_sel:DWORD dst_unused:UNUSED_PAD src0_sel:WORD_1 src1_sel:DWORD
	v_add_f16_e32 v127, v140, v127
	v_add_f16_e32 v140, v189, v178
	;; [unrolled: 1-line block ×5, first 2 shown]
	v_fmamk_f16 v149, v96, 0x3722, v115
	v_add_f16_e32 v146, v116, v146
	v_fmamk_f16 v116, v18, 0x3b29, v119
	v_add_f16_e32 v137, v145, v137
	v_mul_f16_sdwa v145, v18, v36 dst_sel:DWORD dst_unused:UNUSED_PAD src0_sel:WORD_1 src1_sel:DWORD
	v_fma_f16 v141, v102, 0xb461, -v141
	v_fmac_f16_e32 v142, 0x3bb2, v97
	v_fmamk_f16 v194, v98, 0xbbdd, v148
	v_fma_f16 v148, v98, 0xbbdd, -v148
	v_fmac_f16_e32 v151, 0x3bb2, v95
	v_fma_f16 v152, v98, 0x39e9, -v152
	v_fmamk_f16 v201, v95, 0x35c8, v155
	v_add_f16_e32 v128, v17, v128
	v_add_f16_sdwa v129, v17, v129 dst_sel:DWORD dst_unused:UNUSED_PAD src0_sel:WORD_1 src1_sel:DWORD
	v_add_f16_e32 v180, v17, v180
	v_add_f16_e32 v135, v135, v171
	;; [unrolled: 1-line block ×8, first 2 shown]
	v_mul_f16_sdwa v116, v96, v60 dst_sel:DWORD dst_unused:UNUSED_PAD src0_sel:WORD_1 src1_sel:DWORD
	v_fmac_f16_e32 v119, 0xbb29, v18
	v_fmamk_f16 v149, v96, 0xbacd, v145
	v_mov_b32_e32 v150, 0x3a62
	v_pk_mul_f16 v158, 0xbbf7, v18 op_sel_hi:[0,1]
	v_fma_f16 v154, v98, 0x3b76, -v154
	v_fmac_f16_e32 v155, 0xb5c8, v95
	v_add_f16_sdwa v181, v17, v181 dst_sel:DWORD dst_unused:UNUSED_PAD src0_sel:WORD_1 src1_sel:DWORD
	v_add_f16_e32 v128, v141, v128
	v_add_f16_e32 v129, v142, v129
	v_add_f16_e32 v141, v191, v180
	v_add_f16_e32 v135, v148, v135
	v_add_f16_e32 v126, v151, v126
	v_add_f16_e32 v139, v152, v139
	v_add_f16_e32 v148, v201, v170
	v_fma_f16 v115, v96, 0x3722, -v115
	v_fmamk_f16 v151, v18, 0x3836, v116
	v_add_f16_e32 v127, v119, v127
	v_add_f16_e32 v140, v149, v140
	v_mul_f16_sdwa v149, v18, v150 dst_sel:DWORD dst_unused:UNUSED_PAD src0_sel:WORD_1 src1_sel:DWORD
	v_pk_add_f16 v119, v123, v120 neg_lo:[0,1] neg_hi:[0,1]
	v_fmamk_f16 v172, v105, 0x2de8, v109
	v_pk_fma_f16 v109, 0x2de8, v96, v158 op_sel:[0,0,1] op_sel_hi:[0,1,0]
	v_pk_fma_f16 v110, 0x2de8, v96, v158 op_sel:[0,0,1] op_sel_hi:[0,1,0] neg_lo:[0,0,1] neg_hi:[0,0,1]
	v_add_f16_e32 v142, v192, v181
	v_add_f16_e32 v128, v154, v128
	;; [unrolled: 1-line block ×6, first 2 shown]
	v_fma_f16 v115, v96, 0xbacd, -v145
	v_fmac_f16_e32 v116, 0xb836, v18
	v_fmamk_f16 v145, v96, 0xb8d2, v149
	v_mul_f16_sdwa v151, v96, v32 dst_sel:DWORD dst_unused:UNUSED_PAD src0_sel:WORD_1 src1_sel:DWORD
	v_pk_add_f16 v120, v120, v123
	v_pk_mul_f16 v123, 0xbbb2, v119 op_sel_hi:[0,1]
	v_mul_f16_sdwa v159, v18, v106 dst_sel:DWORD dst_unused:UNUSED_PAD src0_sel:WORD_1 src1_sel:DWORD
	v_bfi_b32 v210, 0xffff, v109, v110
	v_add_f16_e32 v142, v203, v142
	v_add_f16_e32 v128, v115, v128
	;; [unrolled: 1-line block ×4, first 2 shown]
	v_fmamk_f16 v145, v18, 0xba62, v151
	v_pk_fma_f16 v115, 0xb461, v120, v123 op_sel:[0,0,1] op_sel_hi:[0,1,0]
	v_pk_fma_f16 v116, 0xb461, v120, v123 op_sel:[0,0,1] op_sel_hi:[0,1,0] neg_lo:[0,0,1] neg_hi:[0,0,1]
	v_mul_f16_sdwa v161, v18, v117 dst_sel:DWORD dst_unused:UNUSED_PAD src0_sel:WORD_1 src1_sel:DWORD
	v_fmamk_f16 v158, v96, 0xbbdd, v159
	v_pk_add_f16 v131, v210, v131
	v_fma_f16 v123, v96, 0xb8d2, -v149
	v_mul_f16_sdwa v124, v119, v124 dst_sel:DWORD dst_unused:UNUSED_PAD src0_sel:WORD_1 src1_sel:DWORD
	v_add_f16_e32 v142, v145, v142
	v_bfi_b32 v145, 0xffff, v115, v116
	v_fma_f16 v159, v96, 0xbbdd, -v159
	v_fmamk_f16 v205, v96, 0xb461, v161
	v_add_f16_e32 v172, v17, v172
	v_add_f16_e32 v134, v194, v134
	;; [unrolled: 1-line block ×3, first 2 shown]
	v_fmac_f16_e32 v151, 0x3a62, v18
	v_add_f16_e32 v122, v123, v122
	v_fmamk_f16 v123, v120, 0xbacd, v124
	v_mul_f16_sdwa v149, v120, v60 dst_sel:DWORD dst_unused:UNUSED_PAD src0_sel:WORD_1 src1_sel:DWORD
	v_pk_add_f16 v131, v145, v131
	v_mul_f16_sdwa v145, v119, v108 dst_sel:DWORD dst_unused:UNUSED_PAD src0_sel:WORD_1 src1_sel:DWORD
	v_fma_f16 v161, v96, 0xb461, -v161
	v_add_f16_e32 v136, v185, v172
	v_add_f16_e32 v133, v159, v133
	;; [unrolled: 1-line block ×5, first 2 shown]
	v_fmamk_f16 v132, v119, 0xb836, v149
	v_fma_f16 v124, v120, 0xbacd, -v124
	v_fmac_f16_e32 v149, 0x3836, v119
	v_fmamk_f16 v151, v120, 0x39e9, v145
	v_mul_f16_sdwa v152, v120, v31 dst_sel:DWORD dst_unused:UNUSED_PAD src0_sel:WORD_1 src1_sel:DWORD
	v_fmamk_f16 v207, v96, 0x3b76, v163
	v_add_f16_e32 v136, v196, v136
	v_add_f16_e32 v135, v161, v135
	;; [unrolled: 1-line block ×6, first 2 shown]
	v_fmamk_f16 v134, v119, 0xb964, v152
	v_mul_f16_sdwa v112, v119, v112 dst_sel:DWORD dst_unused:UNUSED_PAD src0_sel:WORD_1 src1_sel:DWORD
	v_mul_f16_sdwa v143, v120, v28 dst_sel:DWORD dst_unused:UNUSED_PAD src0_sel:WORD_1 src1_sel:DWORD
	v_fma_f16 v145, v120, 0x39e9, -v145
	v_add_f16_e32 v136, v207, v136
	v_fmac_f16_e32 v164, 0x35c8, v18
	v_add_f16_e32 v134, v134, v144
	v_fmamk_f16 v144, v120, 0x3722, v112
	v_fmamk_f16 v149, v119, 0x3b29, v143
	v_add_f16_e32 v135, v145, v135
	v_mul_f16_sdwa v145, v119, v106 dst_sel:DWORD dst_unused:UNUSED_PAD src0_sel:WORD_1 src1_sel:DWORD
	v_add_f16_e32 v126, v164, v126
	v_add_f16_e32 v136, v144, v136
	;; [unrolled: 1-line block ×3, first 2 shown]
	v_fma_f16 v112, v120, 0x3722, -v112
	v_fmac_f16_e32 v143, 0xbb29, v119
	v_fmamk_f16 v146, v120, 0xbbdd, v145
	v_mul_f16_sdwa v151, v120, v107 dst_sel:DWORD dst_unused:UNUSED_PAD src0_sel:WORD_1 src1_sel:DWORD
	v_fmac_f16_e32 v162, 0x3bb2, v18
	v_mov_b32_e32 v149, 0x3bf7
	v_add_f16_e32 v112, v112, v137
	v_add_f16_e32 v126, v143, v126
	;; [unrolled: 1-line block ×3, first 2 shown]
	v_fmamk_f16 v143, v119, 0x31e1, v151
	v_mul_f16_sdwa v146, v120, v37 dst_sel:DWORD dst_unused:UNUSED_PAD src0_sel:WORD_1 src1_sel:DWORD
	v_add_f16_e32 v125, v162, v125
	v_fmac_f16_e32 v152, 0x3964, v119
	v_mul_f16_sdwa v138, v119, v149 dst_sel:DWORD dst_unused:UNUSED_PAD src0_sel:WORD_1 src1_sel:DWORD
	v_fma_f16 v145, v120, 0xbbdd, -v145
	v_add_f16_e32 v143, v143, v147
	v_fmamk_f16 v147, v119, 0xbbf7, v146
	v_add_f16_e32 v125, v152, v125
	v_fmac_f16_e32 v151, 0xb1e1, v119
	v_fmamk_f16 v152, v120, 0x2de8, v138
	v_add_f16_e32 v139, v145, v139
	v_mul_f16_sdwa v145, v119, v114 dst_sel:DWORD dst_unused:UNUSED_PAD src0_sel:WORD_1 src1_sel:DWORD
	v_add_f16_e32 v147, v147, v148
	v_pk_add_f16 v148, v21, v24 neg_lo:[0,1] neg_hi:[0,1]
	v_add_f16_e32 v127, v151, v127
	v_add_f16_e32 v140, v152, v140
	v_fma_f16 v138, v120, 0x2de8, -v138
	v_fmac_f16_e32 v146, 0x3bf7, v119
	v_fmamk_f16 v151, v120, 0x3b76, v145
	v_mul_f16_sdwa v152, v120, v111 dst_sel:DWORD dst_unused:UNUSED_PAD src0_sel:WORD_1 src1_sel:DWORD
	v_pk_add_f16 v21, v24, v21
	v_pk_mul_f16 v24, 0xba62, v148 op_sel_hi:[0,1]
	v_mul_f16_sdwa v117, v148, v117 dst_sel:DWORD dst_unused:UNUSED_PAD src0_sel:WORD_1 src1_sel:DWORD
	v_fma_f16 v145, v120, 0x3b76, -v145
	v_add_f16_e32 v128, v138, v128
	v_add_f16_e32 v129, v146, v129
	;; [unrolled: 1-line block ×3, first 2 shown]
	v_fmamk_f16 v141, v119, 0x35c8, v152
	v_pk_fma_f16 v146, 0xb8d2, v21, v24 op_sel:[0,0,1] op_sel_hi:[0,1,0]
	v_pk_fma_f16 v24, 0xb8d2, v21, v24 op_sel:[0,0,1] op_sel_hi:[0,1,0] neg_lo:[0,0,1] neg_hi:[0,0,1]
	v_fmac_f16_e32 v152, 0xb5c8, v119
	v_fmamk_f16 v151, v21, 0xb461, v117
	v_add_f16_e32 v122, v145, v122
	v_mul_f16_sdwa v145, v21, v30 dst_sel:DWORD dst_unused:UNUSED_PAD src0_sel:WORD_1 src1_sel:DWORD
	v_add_f16_e32 v141, v141, v142
	v_bfi_b32 v142, 0xffff, v146, v24
	v_add_f16_e32 v130, v152, v130
	v_add_f16_e32 v123, v151, v123
	v_fmamk_f16 v151, v148, 0xbbb2, v145
	v_fma_f16 v117, v21, 0xb461, -v117
	v_fmac_f16_e32 v145, 0x3bb2, v148
	v_mul_f16_sdwa v152, v21, v111 dst_sel:DWORD dst_unused:UNUSED_PAD src0_sel:WORD_1 src1_sel:DWORD
	v_pk_add_f16 v131, v142, v131
	v_mul_f16_sdwa v142, v148, v114 dst_sel:DWORD dst_unused:UNUSED_PAD src0_sel:WORD_1 src1_sel:DWORD
	v_add_f16_e32 v117, v117, v124
	v_add_f16_e32 v124, v145, v132
	v_fmamk_f16 v132, v148, 0x35c8, v152
	v_mul_f16_sdwa v145, v148, v36 dst_sel:DWORD dst_unused:UNUSED_PAD src0_sel:WORD_1 src1_sel:DWORD
	v_fmamk_f16 v153, v21, 0x3b76, v142
	v_fma_f16 v142, v21, 0x3b76, -v142
	v_add_f16_e32 v121, v151, v121
	v_add_f16_e32 v132, v132, v134
	v_mul_f16_sdwa v134, v21, v60 dst_sel:DWORD dst_unused:UNUSED_PAD src0_sel:WORD_1 src1_sel:DWORD
	v_fmamk_f16 v151, v21, 0xbacd, v145
	v_add_f16_e32 v135, v142, v135
	v_mul_f16_sdwa v142, v148, v149 dst_sel:DWORD dst_unused:UNUSED_PAD src0_sel:WORD_1 src1_sel:DWORD
	v_fma_f16 v145, v21, 0xbacd, -v145
	v_fmamk_f16 v149, v148, 0x3836, v134
	v_add_f16_e32 v136, v151, v136
	v_fmac_f16_e32 v134, 0xb836, v148
	v_fmamk_f16 v151, v21, 0x2de8, v142
	v_add_f16_e32 v112, v145, v112
	v_add_f16_e32 v144, v149, v144
	v_mul_f16_sdwa v149, v21, v37 dst_sel:DWORD dst_unused:UNUSED_PAD src0_sel:WORD_1 src1_sel:DWORD
	v_add_f16_e32 v126, v134, v126
	v_add_f16_e32 v134, v151, v137
	v_mul_f16_sdwa v145, v21, v31 dst_sel:DWORD dst_unused:UNUSED_PAD src0_sel:WORD_1 src1_sel:DWORD
	v_mul_f16_sdwa v59, v148, v59 dst_sel:DWORD dst_unused:UNUSED_PAD src0_sel:WORD_1 src1_sel:DWORD
	v_fmamk_f16 v137, v148, 0xbbf7, v149
	v_fma_f16 v142, v21, 0x2de8, -v142
	v_fmac_f16_e32 v149, 0x3bf7, v148
	v_fmac_f16_e32 v152, 0xb5c8, v148
	v_fmamk_f16 v151, v21, 0x39e9, v59
	v_add_f16_e32 v137, v137, v143
	v_fmamk_f16 v143, v148, 0x3964, v145
	v_add_f16_e32 v139, v142, v139
	v_mul_f16_sdwa v142, v148, v106 dst_sel:DWORD dst_unused:UNUSED_PAD src0_sel:WORD_1 src1_sel:DWORD
	v_add_f16_e32 v127, v149, v127
	v_add_f16_e32 v140, v151, v140
	;; [unrolled: 1-line block ×3, first 2 shown]
	v_pk_add_f16 v147, v22, v23 neg_lo:[0,1] neg_hi:[0,1]
	v_fma_f16 v59, v21, 0x39e9, -v59
	v_fmac_f16_e32 v145, 0xb964, v148
	v_fmamk_f16 v149, v21, 0xbbdd, v142
	v_mul_f16_sdwa v151, v21, v107 dst_sel:DWORD dst_unused:UNUSED_PAD src0_sel:WORD_1 src1_sel:DWORD
	v_pk_add_f16 v22, v23, v22
	v_pk_mul_f16 v23, 0xb836, v147 op_sel_hi:[0,1]
	v_add_f16_e32 v59, v59, v128
	v_add_f16_e32 v128, v145, v129
	;; [unrolled: 1-line block ×3, first 2 shown]
	v_fmamk_f16 v138, v148, 0x31e1, v151
	v_pk_fma_f16 v145, 0xbacd, v22, v23 op_sel:[0,0,1] op_sel_hi:[0,1,0]
	v_pk_fma_f16 v23, 0xbacd, v22, v23 op_sel:[0,0,1] op_sel_hi:[0,1,0] neg_lo:[0,0,1] neg_hi:[0,0,1]
	v_fma_f16 v142, v21, 0xbbdd, -v142
	v_mul_f16_sdwa v37, v22, v37 dst_sel:DWORD dst_unused:UNUSED_PAD src0_sel:WORD_1 src1_sel:DWORD
	v_add_f16_e32 v138, v138, v141
	v_mul_f16_sdwa v149, v147, v92 dst_sel:DWORD dst_unused:UNUSED_PAD src0_sel:WORD_1 src1_sel:DWORD
	v_bfi_b32 v141, 0xffff, v145, v23
	v_add_f16_e32 v122, v142, v122
	v_mul_f16_sdwa v142, v22, v28 dst_sel:DWORD dst_unused:UNUSED_PAD src0_sel:WORD_1 src1_sel:DWORD
	v_add_f16_e32 v125, v152, v125
	v_fmac_f16_e32 v151, 0xb1e1, v148
	v_pk_add_f16 v131, v141, v131
	v_fmamk_f16 v152, v22, 0x3722, v149
	v_fmamk_f16 v141, v147, 0xbb29, v142
	v_fmac_f16_e32 v142, 0x3b29, v147
	v_mul_f16_sdwa v38, v147, v38 dst_sel:DWORD dst_unused:UNUSED_PAD src0_sel:WORD_1 src1_sel:DWORD
	v_fma_f16 v149, v22, 0x3722, -v149
	v_add_f16_e32 v130, v151, v130
	v_add_f16_e32 v121, v141, v121
	v_fmamk_f16 v141, v147, 0x3bf7, v37
	v_add_f16_e32 v124, v142, v124
	v_mul_f16_sdwa v142, v147, v150 dst_sel:DWORD dst_unused:UNUSED_PAD src0_sel:WORD_1 src1_sel:DWORD
	v_fmac_f16_e32 v37, 0xbbf7, v147
	v_fmamk_f16 v151, v22, 0x2de8, v38
	v_add_f16_e32 v132, v141, v132
	v_mul_f16_sdwa v141, v22, v32 dst_sel:DWORD dst_unused:UNUSED_PAD src0_sel:WORD_1 src1_sel:DWORD
	v_add_f16_e32 v117, v149, v117
	v_fma_f16 v38, v22, 0x2de8, -v38
	v_fmamk_f16 v149, v22, 0xb8d2, v142
	v_add_f16_e32 v37, v37, v125
	v_fmamk_f16 v125, v147, 0xba62, v141
	v_mul_f16_sdwa v114, v147, v114 dst_sel:DWORD dst_unused:UNUSED_PAD src0_sel:WORD_1 src1_sel:DWORD
	v_add_f16_e32 v38, v38, v135
	v_add_f16_e32 v135, v149, v136
	v_fma_f16 v136, v22, 0xb8d2, -v142
	v_add_f16_e32 v125, v125, v144
	v_mul_f16_sdwa v144, v22, v111 dst_sel:DWORD dst_unused:UNUSED_PAD src0_sel:WORD_1 src1_sel:DWORD
	v_fmac_f16_e32 v141, 0x3a62, v147
	v_mul_f16_sdwa v106, v147, v106 dst_sel:DWORD dst_unused:UNUSED_PAD src0_sel:WORD_1 src1_sel:DWORD
	v_add_f16_e32 v112, v136, v112
	v_mul_f16_sdwa v107, v22, v107 dst_sel:DWORD dst_unused:UNUSED_PAD src0_sel:WORD_1 src1_sel:DWORD
	v_fmamk_f16 v136, v147, 0x35c8, v144
	v_fmamk_f16 v142, v22, 0x3b76, v114
	v_add_f16_e32 v126, v141, v126
	v_fma_f16 v114, v22, 0x3b76, -v114
	v_fmamk_f16 v141, v22, 0xbbdd, v106
	v_add_f16_e32 v136, v136, v137
	v_fmamk_f16 v137, v147, 0x31e1, v107
	v_fma_f16 v106, v22, 0xbbdd, -v106
	v_add_f16_e32 v114, v114, v139
	v_add_f16_e32 v139, v141, v140
	v_mul_f16_sdwa v140, v147, v108 dst_sel:DWORD dst_unused:UNUSED_PAD src0_sel:WORD_1 src1_sel:DWORD
	v_add_f16_e32 v137, v137, v143
	v_pk_add_f16 v141, v19, v20 neg_lo:[0,1] neg_hi:[0,1]
	v_fmac_f16_e32 v107, 0xb1e1, v147
	v_mul_f16_sdwa v143, v22, v31 dst_sel:DWORD dst_unused:UNUSED_PAD src0_sel:WORD_1 src1_sel:DWORD
	v_add_f16_e32 v134, v142, v134
	v_fmamk_f16 v142, v22, 0x39e9, v140
	v_pk_add_f16 v19, v20, v19
	v_add_f16_e32 v59, v106, v59
	v_add_f16_e32 v106, v107, v128
	v_fmamk_f16 v107, v147, 0xb964, v143
	v_mul_f16_sdwa v113, v141, v113 dst_sel:DWORD dst_unused:UNUSED_PAD src0_sel:WORD_1 src1_sel:DWORD
	v_add_f16_e32 v128, v142, v129
	v_mul_f16_sdwa v111, v19, v111 dst_sel:DWORD dst_unused:UNUSED_PAD src0_sel:WORD_1 src1_sel:DWORD
	v_mul_f16_sdwa v60, v19, v60 dst_sel:DWORD dst_unused:UNUSED_PAD src0_sel:WORD_1 src1_sel:DWORD
	v_add_f16_e32 v107, v107, v138
	v_fma_f16 v138, v22, 0x39e9, -v140
	v_fmamk_f16 v142, v19, 0x3b76, v113
	v_fma_f16 v113, v19, 0x3b76, -v113
	v_mul_f16_sdwa v36, v141, v36 dst_sel:DWORD dst_unused:UNUSED_PAD src0_sel:WORD_1 src1_sel:DWORD
	v_mul_f16_sdwa v108, v141, v108 dst_sel:DWORD dst_unused:UNUSED_PAD src0_sel:WORD_1 src1_sel:DWORD
	v_add_f16_e32 v122, v138, v122
	v_fmamk_f16 v138, v141, 0xb5c8, v111
	v_add_f16_e32 v113, v113, v117
	v_fmamk_f16 v117, v141, 0x3836, v60
	v_fmac_f16_e32 v60, 0xb836, v141
	v_mul_f16_sdwa v31, v19, v31 dst_sel:DWORD dst_unused:UNUSED_PAD src0_sel:WORD_1 src1_sel:DWORD
	v_add_f16_e32 v133, v153, v133
	v_fmac_f16_e32 v144, 0xb5c8, v147
	v_pk_mul_f16 v20, 0xb1e1, v141 op_sel_hi:[0,1]
	v_add_f16_e32 v121, v138, v121
	v_fmamk_f16 v138, v19, 0xbacd, v36
	v_fma_f16 v36, v19, 0xbacd, -v36
	v_add_f16_e32 v117, v117, v132
	v_fmamk_f16 v132, v19, 0x39e9, v108
	v_add_f16_e32 v37, v60, v37
	v_mul_f16_sdwa v35, v141, v35 dst_sel:DWORD dst_unused:UNUSED_PAD src0_sel:WORD_1 src1_sel:DWORD
	v_fmamk_f16 v60, v141, 0xb964, v31
	v_fmac_f16_e32 v31, 0x3964, v141
	v_mul_f16_sdwa v32, v19, v32 dst_sel:DWORD dst_unused:UNUSED_PAD src0_sel:WORD_1 src1_sel:DWORD
	v_mul_f16_sdwa v92, v141, v92 dst_sel:DWORD dst_unused:UNUSED_PAD src0_sel:WORD_1 src1_sel:DWORD
	v_add_f16_e32 v123, v152, v123
	v_add_f16_e32 v133, v151, v133
	;; [unrolled: 1-line block ×3, first 2 shown]
	v_pk_fma_f16 v129, 0xbbdd, v19, v20 op_sel:[0,0,1] op_sel_hi:[0,1,0]
	v_pk_fma_f16 v20, 0xbbdd, v19, v20 op_sel:[0,0,1] op_sel_hi:[0,1,0] neg_lo:[0,0,1] neg_hi:[0,0,1]
	v_fmac_f16_e32 v111, 0x35c8, v141
	v_add_f16_e32 v36, v36, v38
	v_add_f16_e32 v38, v132, v135
	v_fma_f16 v108, v19, 0x39e9, -v108
	v_fmamk_f16 v132, v19, 0xb8d2, v35
	v_add_f16_e32 v60, v60, v125
	v_add_f16_e32 v31, v31, v126
	v_fmamk_f16 v125, v141, 0x3a62, v32
	v_fma_f16 v35, v19, 0xb8d2, -v35
	v_fmac_f16_e32 v32, 0xba62, v141
	v_mul_f16_sdwa v28, v19, v28 dst_sel:DWORD dst_unused:UNUSED_PAD src0_sel:WORD_1 src1_sel:DWORD
	v_fmamk_f16 v126, v19, 0x3722, v92
	v_fma_f16 v92, v19, 0x3722, -v92
	v_mul_f16_sdwa v29, v141, v29 dst_sel:DWORD dst_unused:UNUSED_PAD src0_sel:WORD_1 src1_sel:DWORD
	v_mul_f16_sdwa v30, v19, v30 dst_sel:DWORD dst_unused:UNUSED_PAD src0_sel:WORD_1 src1_sel:DWORD
	v_bfi_b32 v140, 0xffff, v129, v20
	v_add_f16_e32 v123, v142, v123
	v_add_f16_e32 v111, v111, v124
	;; [unrolled: 1-line block ×8, first 2 shown]
	v_fmamk_f16 v114, v141, 0xbb29, v28
	v_add_f16_e32 v59, v92, v59
	v_fmac_f16_e32 v28, 0x3b29, v141
	v_fmamk_f16 v92, v19, 0xb461, v29
	v_fmamk_f16 v127, v141, 0x3bb2, v30
	v_pk_mul_f16 v105, 0xbbdd, v105 op_sel_hi:[0,1]
	v_pk_add_f16 v131, v140, v131
	v_add_f16_e32 v28, v28, v106
	v_add_f16_e32 v92, v92, v128
	;; [unrolled: 1-line block ×3, first 2 shown]
	v_pack_b32_f16 v107, v124, v117
	v_pack_b32_f16 v117, v123, v121
	;; [unrolled: 1-line block ×3, first 2 shown]
	v_pk_fma_f16 v121, 0xb1e1, v101, v105 op_sel:[0,0,1] op_sel_hi:[0,1,0]
	v_pack_b32_f16 v38, v38, v60
	v_pk_mul_f16 v60, 0x3b76, v102 op_sel_hi:[0,1]
	ds_write2_b32 v61, v118, v131 offset1:1
	ds_write2_b32 v61, v117, v107 offset0:2 offset1:3
	v_pk_mul_f16 v98, 0xbacd, v98 op_sel_hi:[0,1]
	v_alignbit_b32 v102, s0, v121, 16
	ds_write2_b32 v61, v38, v112 offset0:4 offset1:5
	v_pack_b32_f16 v38, v92, v106
	v_pk_fma_f16 v92, 0xb1e1, v101, v105 op_sel:[0,0,1] op_sel_hi:[0,1,0] neg_lo:[0,1,0] neg_hi:[0,1,0]
	v_pk_fma_f16 v101, 0x35c8, v97, v60 op_sel:[0,0,1] op_sel_hi:[0,1,0]
	v_alignbit_b32 v105, s0, v17, 16
	v_pk_add_f16 v102, v17, v102
	v_pk_fma_f16 v60, 0x35c8, v97, v60 op_sel:[0,0,1] op_sel_hi:[0,1,0] neg_lo:[0,1,0] neg_hi:[0,1,0]
	v_pk_add_f16 v92, v17, v92 op_sel:[1,0] op_sel_hi:[0,1]
	v_alignbit_b32 v106, s0, v101, 16
	v_pk_fma_f16 v97, 0xb836, v95, v98 op_sel:[0,0,1] op_sel_hi:[0,1,0]
	v_pk_add_f16 v105, v105, v121
	v_pk_mul_f16 v96, 0x39e9, v96 op_sel_hi:[0,1]
	v_pk_add_f16 v60, v60, v92
	v_pk_add_f16 v102, v106, v102
	v_alignbit_b32 v92, s0, v97, 16
	v_pk_fma_f16 v95, 0xb836, v95, v98 op_sel:[0,0,1] op_sel_hi:[0,1,0] neg_lo:[0,1,0] neg_hi:[0,1,0]
	v_pk_fma_f16 v98, 0x3964, v18, v96 op_sel:[0,0,1] op_sel_hi:[0,1,0]
	v_pk_add_f16 v101, v101, v105
	v_pk_mul_f16 v105, 0xb8d2, v120 op_sel_hi:[0,1]
	v_pk_add_f16 v92, v92, v102
	v_pk_add_f16 v60, v95, v60
	v_alignbit_b32 v95, s0, v98, 16
	v_pk_fma_f16 v18, 0x3964, v18, v96 op_sel:[0,0,1] op_sel_hi:[0,1,0] neg_lo:[0,1,0] neg_hi:[0,1,0]
	v_pk_fma_f16 v96, 0xba62, v119, v105 op_sel:[0,0,1] op_sel_hi:[0,1,0]
	v_bfi_b32 v93, 0xffff, v94, v93
	v_pk_add_f16 v97, v97, v101
	v_pk_add_f16 v92, v95, v92
	;; [unrolled: 1-line block ×3, first 2 shown]
	v_alignbit_b32 v60, s0, v96, 16
	v_pk_mul_f16 v21, 0x3722, v21 op_sel_hi:[0,1]
	v_pk_add_f16 v17, v17, v93
	v_bfi_b32 v93, 0xffff, v100, v99
	v_pk_fma_f16 v95, 0xba62, v119, v105 op_sel:[0,0,1] op_sel_hi:[0,1,0] neg_lo:[0,1,0] neg_hi:[0,1,0]
	v_pk_add_f16 v97, v98, v97
	v_pk_add_f16 v60, v60, v92
	v_pk_fma_f16 v92, 0x3b29, v148, v21 op_sel:[0,0,1] op_sel_hi:[0,1,0]
	v_pk_mul_f16 v22, 0xb461, v22 op_sel_hi:[0,1]
	v_pk_add_f16 v17, v93, v17
	v_bfi_b32 v93, 0xffff, v104, v103
	v_pk_add_f16 v18, v95, v18
	v_pk_add_f16 v94, v96, v97
	v_alignbit_b32 v95, s0, v92, 16
	v_pk_fma_f16 v21, 0x3b29, v148, v21 op_sel:[0,0,1] op_sel_hi:[0,1,0] neg_lo:[0,1,0] neg_hi:[0,1,0]
	v_pk_fma_f16 v96, 0xbbb2, v147, v22 op_sel:[0,0,1] op_sel_hi:[0,1,0]
	v_pk_add_f16 v17, v93, v17
	v_bfi_b32 v93, 0xffff, v110, v109
	v_fma_f16 v29, v19, 0xb461, -v29
	v_pk_add_f16 v60, v95, v60
	v_pk_add_f16 v18, v21, v18
	v_alignbit_b32 v21, s0, v96, 16
	v_pk_mul_f16 v19, 0x2de8, v19 op_sel_hi:[0,1]
	v_pk_add_f16 v92, v92, v94
	v_pk_fma_f16 v22, 0xbbb2, v147, v22 op_sel:[0,0,1] op_sel_hi:[0,1,0] neg_lo:[0,1,0] neg_hi:[0,1,0]
	v_pk_add_f16 v17, v93, v17
	v_bfi_b32 v93, 0xffff, v116, v115
	v_pk_add_f16 v21, v21, v60
	v_pk_fma_f16 v60, 0x3bf7, v141, v19 op_sel:[0,0,1] op_sel_hi:[0,1,0]
	v_pk_add_f16 v18, v22, v18
	v_pk_fma_f16 v19, 0x3bf7, v141, v19 op_sel:[0,0,1] op_sel_hi:[0,1,0] neg_lo:[0,1,0] neg_hi:[0,1,0]
	v_pk_add_f16 v22, v96, v92
	v_pk_add_f16 v17, v93, v17
	v_bfi_b32 v24, 0xffff, v24, v146
	v_fmac_f16_e32 v143, 0x3964, v147
	v_alignbit_b32 v92, s0, v60, 16
	v_pk_add_f16 v18, v19, v18
	v_pk_add_f16 v19, v60, v22
	;; [unrolled: 1-line block ×3, first 2 shown]
	v_bfi_b32 v22, 0xffff, v23, v145
	v_add_f16_e32 v130, v143, v130
	v_fmac_f16_e32 v30, 0xbbb2, v141
	v_add_f16_e32 v126, v126, v139
	v_add_f16_e32 v114, v114, v137
	v_pk_add_f16 v21, v92, v21
	v_pk_add_f16 v17, v22, v17
	v_bfi_b32 v20, 0xffff, v20, v129
	v_add_f16_e32 v29, v29, v122
	v_add_f16_e32 v30, v30, v130
	v_pack_b32_f16 v102, v126, v114
	v_alignbit_b32 v19, v19, v18, 16
	v_pack_b32_f16 v18, v21, v18
	v_pack_b32_f16 v24, v35, v32
	v_pk_add_f16 v35, v20, v17
	v_add_nc_u32_e32 v17, 0xa00, v42
	v_pack_b32_f16 v21, v59, v28
	v_pack_b32_f16 v23, v29, v30
	;; [unrolled: 1-line block ×5, first 2 shown]
	v_add_nc_u32_e32 v36, 0xe00, v42
	ds_write2_b32 v61, v102, v38 offset0:6 offset1:7
	ds_write2_b32 v61, v18, v19 offset0:8 offset1:9
	;; [unrolled: 1-line block ×5, first 2 shown]
	ds_write_b32 v61, v35 offset:64
	s_waitcnt lgkmcnt(0)
	s_barrier
	buffer_gl0_inv
	ds_read2_b32 v[23:24], v42 offset1:68
	ds_read2_b32 v[31:32], v27 offset0:66 offset1:134
	ds_read2_b32 v[19:20], v42 offset0:136 offset1:204
	;; [unrolled: 1-line block ×7, first 2 shown]
	v_lshrrev_b32_e32 v36, 16, v35
	s_and_saveexec_b32 s0, vcc_lo
	s_cbranch_execz .LBB0_11
; %bb.10:
	ds_read_b32 v35, v42 offset:2176
	ds_read_b32 v33, v42 offset:4488
	s_waitcnt lgkmcnt(1)
	v_lshrrev_b32_e32 v36, 16, v35
	s_waitcnt lgkmcnt(0)
	v_lshrrev_b32_e32 v34, 16, v33
.LBB0_11:
	s_or_b32 exec_lo, exec_lo, s0
	s_waitcnt lgkmcnt(6)
	v_lshrrev_b32_e32 v38, 16, v31
	v_lshrrev_b32_e32 v60, 16, v32
	s_waitcnt lgkmcnt(4)
	v_lshrrev_b32_e32 v92, 16, v29
	v_mul_f16_sdwa v103, v72, v31 dst_sel:DWORD dst_unused:UNUSED_PAD src0_sel:WORD_1 src1_sel:DWORD
	v_mul_f16_sdwa v106, v73, v32 dst_sel:DWORD dst_unused:UNUSED_PAD src0_sel:WORD_1 src1_sel:DWORD
	;; [unrolled: 1-line block ×4, first 2 shown]
	v_lshrrev_b32_e32 v94, 16, v30
	s_waitcnt lgkmcnt(2)
	v_lshrrev_b32_e32 v96, 16, v27
	s_waitcnt lgkmcnt(0)
	v_lshrrev_b32_e32 v100, 16, v25
	v_fmac_f16_e32 v102, v72, v31
	v_fma_f16 v31, v72, v38, -v103
	v_fmac_f16_e32 v104, v73, v32
	v_mul_f16_sdwa v32, v70, v92 dst_sel:DWORD dst_unused:UNUSED_PAD src0_sel:WORD_1 src1_sel:DWORD
	v_fma_f16 v38, v73, v60, -v106
	v_mul_f16_sdwa v60, v70, v29 dst_sel:DWORD dst_unused:UNUSED_PAD src0_sel:WORD_1 src1_sel:DWORD
	v_mul_f16_sdwa v72, v71, v94 dst_sel:DWORD dst_unused:UNUSED_PAD src0_sel:WORD_1 src1_sel:DWORD
	;; [unrolled: 1-line block ×3, first 2 shown]
	v_lshrrev_b32_e32 v98, 16, v28
	v_fmac_f16_e32 v32, v70, v29
	v_mul_f16_sdwa v29, v69, v96 dst_sel:DWORD dst_unused:UNUSED_PAD src0_sel:WORD_1 src1_sel:DWORD
	v_fma_f16 v60, v70, v92, -v60
	v_mul_f16_sdwa v70, v69, v27 dst_sel:DWORD dst_unused:UNUSED_PAD src0_sel:WORD_1 src1_sel:DWORD
	v_lshrrev_b32_e32 v105, 16, v26
	v_fmac_f16_e32 v72, v71, v30
	v_fma_f16 v30, v71, v94, -v73
	v_mul_f16_sdwa v73, v67, v100 dst_sel:DWORD dst_unused:UNUSED_PAD src0_sel:WORD_1 src1_sel:DWORD
	v_fmac_f16_e32 v29, v69, v27
	v_mul_f16_sdwa v27, v68, v98 dst_sel:DWORD dst_unused:UNUSED_PAD src0_sel:WORD_1 src1_sel:DWORD
	v_mul_f16_sdwa v71, v68, v28 dst_sel:DWORD dst_unused:UNUSED_PAD src0_sel:WORD_1 src1_sel:DWORD
	v_fma_f16 v69, v69, v96, -v70
	v_mul_f16_sdwa v70, v67, v25 dst_sel:DWORD dst_unused:UNUSED_PAD src0_sel:WORD_1 src1_sel:DWORD
	v_lshrrev_b32_e32 v37, 16, v23
	v_fmac_f16_e32 v73, v67, v25
	v_mul_f16_sdwa v25, v66, v105 dst_sel:DWORD dst_unused:UNUSED_PAD src0_sel:WORD_1 src1_sel:DWORD
	v_lshrrev_b32_e32 v59, 16, v24
	v_fmac_f16_e32 v27, v68, v28
	v_fma_f16 v28, v68, v98, -v71
	v_fma_f16 v67, v67, v100, -v70
	v_mul_f16_sdwa v70, v65, v34 dst_sel:DWORD dst_unused:UNUSED_PAD src0_sel:WORD_1 src1_sel:DWORD
	v_mul_f16_sdwa v71, v65, v33 dst_sel:DWORD dst_unused:UNUSED_PAD src0_sel:WORD_1 src1_sel:DWORD
	v_lshrrev_b32_e32 v61, 16, v19
	v_mul_f16_sdwa v68, v66, v26 dst_sel:DWORD dst_unused:UNUSED_PAD src0_sel:WORD_1 src1_sel:DWORD
	v_lshrrev_b32_e32 v93, 16, v20
	v_fmac_f16_e32 v25, v66, v26
	v_sub_f16_e32 v26, v23, v102
	v_sub_f16_e32 v31, v37, v31
	v_lshrrev_b32_e32 v95, 16, v21
	v_fmac_f16_e32 v70, v65, v33
	v_fma_f16 v33, v65, v34, -v71
	v_sub_f16_e32 v34, v24, v104
	v_sub_f16_e32 v38, v59, v38
	v_lshrrev_b32_e32 v97, 16, v22
	v_sub_f16_e32 v32, v19, v32
	v_sub_f16_e32 v60, v61, v60
	v_lshrrev_b32_e32 v99, 16, v17
	v_lshrrev_b32_e32 v101, 16, v18
	v_fma_f16 v66, v66, v105, -v68
	v_fma_f16 v23, v23, 2.0, -v26
	v_fma_f16 v37, v37, 2.0, -v31
	v_sub_f16_e32 v65, v20, v72
	v_sub_f16_e32 v30, v93, v30
	v_fma_f16 v24, v24, 2.0, -v34
	v_fma_f16 v59, v59, 2.0, -v38
	v_sub_f16_e32 v29, v21, v29
	v_sub_f16_e32 v68, v95, v69
	v_fma_f16 v19, v19, 2.0, -v32
	v_fma_f16 v61, v61, 2.0, -v60
	v_sub_f16_e32 v27, v22, v27
	v_sub_f16_e32 v28, v97, v28
	v_sub_f16_e32 v72, v17, v73
	v_sub_f16_e32 v67, v99, v67
	v_sub_f16_e32 v25, v18, v25
	v_sub_f16_e32 v66, v101, v66
	v_fma_f16 v20, v20, 2.0, -v65
	v_fma_f16 v69, v93, 2.0, -v30
	v_pack_b32_f16 v23, v23, v37
	v_pack_b32_f16 v26, v26, v31
	v_fma_f16 v21, v21, 2.0, -v29
	v_fma_f16 v71, v95, 2.0, -v68
	v_pack_b32_f16 v24, v24, v59
	v_pack_b32_f16 v31, v34, v38
	;; [unrolled: 4-line block ×3, first 2 shown]
	v_fma_f16 v92, v17, 2.0, -v72
	v_fma_f16 v93, v99, 2.0, -v67
	v_fma_f16 v94, v18, 2.0, -v25
	v_fma_f16 v95, v101, 2.0, -v66
	v_sub_f16_e32 v17, v35, v70
	v_sub_f16_e32 v18, v36, v33
	s_barrier
	buffer_gl0_inv
	ds_write2_b32 v79, v23, v26 offset1:17
	ds_write2_b32 v80, v24, v31 offset1:17
	;; [unrolled: 1-line block ×3, first 2 shown]
	v_pack_b32_f16 v19, v20, v69
	v_pack_b32_f16 v20, v65, v30
	;; [unrolled: 1-line block ×10, first 2 shown]
	ds_write2_b32 v74, v19, v20 offset1:17
	ds_write2_b32 v75, v21, v23 offset1:17
	;; [unrolled: 1-line block ×5, first 2 shown]
	s_and_saveexec_b32 s0, vcc_lo
	s_cbranch_execz .LBB0_13
; %bb.12:
	v_mad_u16 v19, v63, 34, v64
	v_fma_f16 v20, v35, 2.0, -v17
	v_fma_f16 v21, v36, 2.0, -v18
	v_and_b32_e32 v19, 0xffff, v19
	v_pack_b32_f16 v20, v20, v21
	v_perm_b32 v21, v18, v17, 0x5040100
	v_lshl_add_u32 v19, v19, 2, v58
	ds_write2_b32 v19, v20, v21 offset1:17
.LBB0_13:
	s_or_b32 exec_lo, exec_lo, s0
	s_waitcnt lgkmcnt(0)
	s_barrier
	buffer_gl0_inv
	ds_read2_b32 v[28:29], v42 offset1:68
	ds_read2_b32 v[22:23], v42 offset0:136 offset1:204
	v_add_nc_u32_e32 v19, 0x400, v42
	ds_read2_b32 v[24:25], v19 offset0:16 offset1:84
	ds_read2_b32 v[30:31], v19 offset0:152 offset1:220
	v_add_nc_u32_e32 v20, 0x800, v42
	v_add_nc_u32_e32 v21, 0xc00, v42
	ds_read2_b32 v[32:33], v20 offset0:32 offset1:100
	ds_read2_b32 v[34:35], v20 offset0:168 offset1:236
	;; [unrolled: 1-line block ×4, first 2 shown]
	ds_read_b32 v38, v42 offset:4352
	s_waitcnt lgkmcnt(0)
	s_barrier
	buffer_gl0_inv
	v_lshrrev_b32_e32 v26, 16, v29
	v_mul_f16_sdwa v75, v12, v29 dst_sel:DWORD dst_unused:UNUSED_PAD src0_sel:WORD_1 src1_sel:DWORD
	v_lshrrev_b32_e32 v27, 16, v22
	v_lshrrev_b32_e32 v60, 16, v23
	v_mul_f16_sdwa v77, v13, v22 dst_sel:DWORD dst_unused:UNUSED_PAD src0_sel:WORD_1 src1_sel:DWORD
	v_mul_f16_sdwa v72, v12, v26 dst_sel:DWORD dst_unused:UNUSED_PAD src0_sel:WORD_1 src1_sel:DWORD
	v_lshrrev_b32_e32 v61, 16, v24
	v_fma_f16 v75, v12, v26, -v75
	v_lshrrev_b32_e32 v63, 16, v25
	v_lshrrev_b32_e32 v64, 16, v30
	v_fmac_f16_e32 v72, v12, v29
	v_mul_f16_sdwa v12, v14, v23 dst_sel:DWORD dst_unused:UNUSED_PAD src0_sel:WORD_1 src1_sel:DWORD
	v_mul_f16_sdwa v29, v13, v27 dst_sel:DWORD dst_unused:UNUSED_PAD src0_sel:WORD_1 src1_sel:DWORD
	;; [unrolled: 1-line block ×4, first 2 shown]
	v_lshrrev_b32_e32 v65, 16, v31
	v_fma_f16 v60, v14, v60, -v12
	v_mul_f16_sdwa v12, v15, v24 dst_sel:DWORD dst_unused:UNUSED_PAD src0_sel:WORD_1 src1_sel:DWORD
	v_fmac_f16_e32 v29, v13, v22
	v_fma_f16 v77, v13, v27, -v77
	v_fmac_f16_e32 v78, v14, v23
	v_mul_f16_sdwa v23, v8, v63 dst_sel:DWORD dst_unused:UNUSED_PAD src0_sel:WORD_1 src1_sel:DWORD
	v_fmac_f16_e32 v26, v15, v24
	v_mul_f16_sdwa v13, v8, v25 dst_sel:DWORD dst_unused:UNUSED_PAD src0_sel:WORD_1 src1_sel:DWORD
	v_mul_f16_sdwa v14, v9, v64 dst_sel:DWORD dst_unused:UNUSED_PAD src0_sel:WORD_1 src1_sel:DWORD
	v_fma_f16 v27, v15, v61, -v12
	v_mul_f16_sdwa v15, v9, v30 dst_sel:DWORD dst_unused:UNUSED_PAD src0_sel:WORD_1 src1_sel:DWORD
	v_fmac_f16_e32 v23, v8, v25
	v_fma_f16 v24, v8, v63, -v13
	v_fmac_f16_e32 v14, v9, v30
	v_mul_f16_sdwa v12, v10, v65 dst_sel:DWORD dst_unused:UNUSED_PAD src0_sel:WORD_1 src1_sel:DWORD
	v_mul_f16_sdwa v8, v10, v31 dst_sel:DWORD dst_unused:UNUSED_PAD src0_sel:WORD_1 src1_sel:DWORD
	v_fma_f16 v15, v9, v64, -v15
	v_add_f16_e32 v9, v28, v72
	v_add_f16_sdwa v22, v28, v75 dst_sel:DWORD dst_unused:UNUSED_PAD src0_sel:WORD_1 src1_sel:DWORD
	v_fmac_f16_e32 v12, v10, v31
	v_fma_f16 v13, v10, v65, -v8
	v_lshrrev_b32_e32 v66, 16, v32
	v_add_f16_e32 v10, v9, v29
	v_add_f16_e32 v22, v22, v77
	v_lshrrev_b32_e32 v67, 16, v33
	v_mul_f16_sdwa v25, v11, v32 dst_sel:DWORD dst_unused:UNUSED_PAD src0_sel:WORD_1 src1_sel:DWORD
	v_lshrrev_b32_e32 v68, 16, v34
	v_add_f16_e32 v30, v10, v78
	v_add_f16_e32 v22, v22, v60
	v_mul_f16_sdwa v9, v4, v67 dst_sel:DWORD dst_unused:UNUSED_PAD src0_sel:WORD_1 src1_sel:DWORD
	v_fma_f16 v10, v11, v66, -v25
	v_mul_f16_sdwa v25, v4, v33 dst_sel:DWORD dst_unused:UNUSED_PAD src0_sel:WORD_1 src1_sel:DWORD
	v_add_f16_e32 v30, v30, v26
	v_add_f16_e32 v22, v22, v27
	v_mul_f16_sdwa v8, v11, v66 dst_sel:DWORD dst_unused:UNUSED_PAD src0_sel:WORD_1 src1_sel:DWORD
	v_fmac_f16_e32 v9, v4, v33
	v_fma_f16 v4, v4, v67, -v25
	v_add_f16_e32 v25, v30, v23
	v_add_f16_e32 v30, v22, v24
	v_fmac_f16_e32 v8, v11, v32
	v_mul_f16_sdwa v11, v5, v68 dst_sel:DWORD dst_unused:UNUSED_PAD src0_sel:WORD_1 src1_sel:DWORD
	v_mul_f16_sdwa v31, v5, v34 dst_sel:DWORD dst_unused:UNUSED_PAD src0_sel:WORD_1 src1_sel:DWORD
	v_lshrrev_b32_e32 v69, 16, v35
	v_add_f16_e32 v30, v30, v15
	v_lshrrev_b32_e32 v70, 16, v36
	v_fmac_f16_e32 v11, v5, v34
	v_fma_f16 v5, v5, v68, -v31
	v_add_f16_e32 v31, v25, v14
	v_add_f16_e32 v30, v30, v13
	v_lshrrev_b32_e32 v71, 16, v37
	v_mul_f16_sdwa v22, v6, v69 dst_sel:DWORD dst_unused:UNUSED_PAD src0_sel:WORD_1 src1_sel:DWORD
	v_mul_f16_sdwa v32, v6, v35 dst_sel:DWORD dst_unused:UNUSED_PAD src0_sel:WORD_1 src1_sel:DWORD
	v_add_f16_e32 v31, v31, v12
	v_add_f16_e32 v30, v30, v10
	v_mul_f16_sdwa v25, v7, v70 dst_sel:DWORD dst_unused:UNUSED_PAD src0_sel:WORD_1 src1_sel:DWORD
	v_fmac_f16_e32 v22, v6, v35
	v_fma_f16 v6, v6, v69, -v32
	v_add_f16_e32 v31, v31, v8
	v_add_f16_e32 v30, v30, v4
	v_mul_f16_sdwa v32, v7, v36 dst_sel:DWORD dst_unused:UNUSED_PAD src0_sel:WORD_1 src1_sel:DWORD
	v_mul_f16_sdwa v33, v0, v71 dst_sel:DWORD dst_unused:UNUSED_PAD src0_sel:WORD_1 src1_sel:DWORD
	;; [unrolled: 1-line block ×3, first 2 shown]
	v_add_f16_e32 v31, v31, v9
	v_add_f16_e32 v30, v30, v5
	v_lshrrev_b32_e32 v73, 16, v58
	v_fmac_f16_e32 v25, v7, v36
	v_fma_f16 v7, v7, v70, -v32
	v_fmac_f16_e32 v33, v0, v37
	v_fma_f16 v32, v0, v71, -v34
	v_add_f16_e32 v0, v31, v11
	v_add_f16_e32 v30, v30, v6
	v_lshrrev_b32_e32 v74, 16, v59
	v_mul_f16_sdwa v34, v1, v73 dst_sel:DWORD dst_unused:UNUSED_PAD src0_sel:WORD_1 src1_sel:DWORD
	v_mul_f16_sdwa v31, v1, v58 dst_sel:DWORD dst_unused:UNUSED_PAD src0_sel:WORD_1 src1_sel:DWORD
	v_add_f16_e32 v0, v0, v22
	v_add_f16_e32 v30, v30, v7
	v_lshrrev_b32_e32 v76, 16, v38
	v_mul_f16_sdwa v35, v2, v74 dst_sel:DWORD dst_unused:UNUSED_PAD src0_sel:WORD_1 src1_sel:DWORD
	v_fmac_f16_e32 v34, v1, v58
	v_fma_f16 v31, v1, v73, -v31
	v_mul_f16_sdwa v1, v3, v38 dst_sel:DWORD dst_unused:UNUSED_PAD src0_sel:WORD_1 src1_sel:DWORD
	v_add_f16_e32 v0, v0, v25
	v_mul_f16_sdwa v37, v2, v59 dst_sel:DWORD dst_unused:UNUSED_PAD src0_sel:WORD_1 src1_sel:DWORD
	v_add_f16_e32 v30, v30, v32
	v_fmac_f16_e32 v35, v2, v59
	v_mul_f16_sdwa v36, v3, v76 dst_sel:DWORD dst_unused:UNUSED_PAD src0_sel:WORD_1 src1_sel:DWORD
	v_fma_f16 v1, v3, v76, -v1
	v_add_f16_e32 v0, v0, v33
	v_fma_f16 v2, v2, v74, -v37
	v_add_f16_e32 v30, v30, v31
	v_fmac_f16_e32 v36, v3, v38
	v_sub_f16_e32 v3, v75, v1
	v_add_f16_e32 v0, v0, v34
	v_add_f16_e32 v38, v75, v1
	;; [unrolled: 1-line block ×4, first 2 shown]
	v_mul_f16_e32 v58, 0xb5c8, v3
	v_add_f16_e32 v0, v0, v35
	v_sub_f16_e32 v59, v72, v36
	v_mul_f16_e32 v61, 0x3b76, v38
	v_add_f16_e32 v1, v30, v1
	v_mul_f16_e32 v30, 0xb964, v3
	v_mul_f16_e32 v65, 0x39e9, v38
	;; [unrolled: 1-line block ×14, first 2 shown]
	v_sub_f16_e32 v100, v77, v2
	v_add_f16_e32 v2, v77, v2
	v_fmamk_f16 v63, v37, 0x3b76, v58
	v_add_f16_e32 v0, v0, v36
	v_fmamk_f16 v36, v59, 0x35c8, v61
	v_fma_f16 v58, v37, 0x3b76, -v58
	v_fmac_f16_e32 v61, 0xb5c8, v59
	v_fmamk_f16 v64, v37, 0x39e9, v30
	v_fmamk_f16 v67, v59, 0x3964, v65
	v_fma_f16 v30, v37, 0x39e9, -v30
	v_fmac_f16_e32 v65, 0xb964, v59
	v_fmamk_f16 v69, v37, 0x3722, v66
	;; [unrolled: 4-line block ×7, first 2 shown]
	v_fmamk_f16 v101, v59, 0x31e1, v38
	v_fma_f16 v3, v37, 0xbbdd, -v3
	v_add_f16_e32 v37, v29, v35
	v_mul_f16_e32 v77, 0xb964, v100
	v_fmac_f16_e32 v38, 0xb1e1, v59
	v_sub_f16_e32 v29, v29, v35
	v_mul_f16_e32 v35, 0x39e9, v2
	v_add_f16_e32 v63, v28, v63
	v_add_f16_sdwa v36, v28, v36 dst_sel:DWORD dst_unused:UNUSED_PAD src0_sel:WORD_1 src1_sel:DWORD
	v_add_f16_e32 v58, v28, v58
	v_add_f16_sdwa v61, v28, v61 dst_sel:DWORD dst_unused:UNUSED_PAD src0_sel:WORD_1 src1_sel:DWORD
	;; [unrolled: 2-line block ×15, first 2 shown]
	v_fmamk_f16 v101, v37, 0x39e9, v77
	v_add_f16_e32 v3, v28, v3
	v_add_f16_sdwa v28, v28, v38 dst_sel:DWORD dst_unused:UNUSED_PAD src0_sel:WORD_1 src1_sel:DWORD
	v_fmamk_f16 v38, v29, 0x3964, v35
	v_mul_f16_e32 v102, 0xbbf7, v100
	v_fmac_f16_e32 v35, 0xb964, v29
	v_add_f16_e32 v63, v101, v63
	v_fma_f16 v77, v37, 0x39e9, -v77
	v_add_f16_e32 v36, v38, v36
	v_fmamk_f16 v38, v37, 0x2de8, v102
	v_mul_f16_e32 v101, 0x2de8, v2
	v_add_f16_e32 v35, v35, v61
	v_mul_f16_e32 v61, 0xba62, v100
	v_add_f16_e32 v58, v77, v58
	v_add_f16_e32 v38, v38, v64
	v_fmamk_f16 v64, v29, 0x3bf7, v101
	v_fma_f16 v77, v37, 0x2de8, -v102
	v_fmamk_f16 v102, v37, 0xb8d2, v61
	v_mul_f16_e32 v103, 0xb8d2, v2
	v_fmac_f16_e32 v101, 0xbbf7, v29
	v_add_f16_e32 v64, v64, v67
	v_add_f16_e32 v30, v77, v30
	;; [unrolled: 1-line block ×3, first 2 shown]
	v_fmamk_f16 v69, v29, 0x3a62, v103
	v_mul_f16_e32 v77, 0xb1e1, v100
	v_add_f16_e32 v65, v101, v65
	v_fma_f16 v61, v37, 0xb8d2, -v61
	v_fmac_f16_e32 v103, 0xba62, v29
	v_mul_f16_e32 v101, 0xbbdd, v2
	v_add_f16_e32 v69, v69, v70
	v_fmamk_f16 v70, v37, 0xbbdd, v77
	v_add_f16_e32 v61, v61, v66
	v_add_f16_e32 v66, v103, v68
	v_fmamk_f16 v68, v29, 0x31e1, v101
	v_mul_f16_e32 v102, 0x3836, v100
	v_add_f16_e32 v70, v70, v73
	v_fma_f16 v73, v37, 0xbbdd, -v77
	v_fmac_f16_e32 v101, 0xb1e1, v29
	v_add_f16_e32 v68, v68, v75
	v_fmamk_f16 v75, v37, 0xbacd, v102
	v_mul_f16_e32 v77, 0xbacd, v2
	v_add_f16_e32 v71, v73, v71
	v_mul_f16_e32 v73, 0x3bb2, v100
	v_add_f16_e32 v72, v101, v72
	v_add_f16_e32 v75, v75, v76
	v_fmamk_f16 v76, v29, 0xb836, v77
	v_fma_f16 v101, v37, 0xbacd, -v102
	v_fmac_f16_e32 v77, 0x3836, v29
	v_fmamk_f16 v102, v37, 0xb461, v73
	v_mul_f16_e32 v103, 0xb461, v2
	v_add_f16_e32 v76, v76, v81
	v_add_f16_e32 v74, v101, v74
	;; [unrolled: 1-line block ×4, first 2 shown]
	v_fmamk_f16 v81, v29, 0xbbb2, v103
	v_mul_f16_e32 v93, 0x3b29, v100
	v_fma_f16 v73, v37, 0xb461, -v73
	v_mul_f16_e32 v101, 0x3722, v2
	v_mul_f16_e32 v100, 0x35c8, v100
	v_add_f16_e32 v81, v81, v94
	v_fmamk_f16 v94, v37, 0x3722, v93
	v_fma_f16 v93, v37, 0x3722, -v93
	v_add_f16_e32 v73, v73, v80
	v_fmamk_f16 v80, v29, 0xbb29, v101
	v_fmac_f16_e32 v101, 0x3b29, v29
	v_add_f16_e32 v94, v94, v97
	v_fmamk_f16 v97, v37, 0x3b76, v100
	v_add_f16_e32 v93, v93, v95
	v_sub_f16_e32 v95, v60, v31
	v_mul_f16_e32 v2, 0x3b76, v2
	v_add_f16_e32 v96, v101, v96
	v_add_f16_e32 v97, v97, v99
	;; [unrolled: 1-line block ×3, first 2 shown]
	v_mul_f16_e32 v101, 0xbb29, v95
	v_add_f16_e32 v31, v60, v31
	v_fmac_f16_e32 v103, 0x3bb2, v29
	v_add_f16_e32 v80, v80, v98
	v_fmamk_f16 v98, v29, 0xb5c8, v2
	v_fma_f16 v37, v37, 0x3b76, -v100
	v_fmac_f16_e32 v2, 0x35c8, v29
	v_sub_f16_e32 v29, v78, v34
	v_fmamk_f16 v34, v99, 0x3722, v101
	v_mul_f16_e32 v60, 0x3722, v31
	v_add_f16_e32 v3, v37, v3
	v_add_f16_e32 v2, v2, v28
	v_mul_f16_e32 v37, 0xba62, v95
	v_add_f16_e32 v28, v34, v63
	v_fmamk_f16 v34, v29, 0x3b29, v60
	v_fma_f16 v63, v99, 0x3722, -v101
	v_fmac_f16_e32 v60, 0xbb29, v29
	v_mul_f16_e32 v78, 0xb8d2, v31
	v_add_f16_e32 v59, v98, v59
	v_add_f16_e32 v34, v34, v36
	v_fmamk_f16 v36, v99, 0xb8d2, v37
	v_add_f16_e32 v58, v63, v58
	v_add_f16_e32 v35, v60, v35
	v_fmamk_f16 v60, v29, 0x3a62, v78
	v_mul_f16_e32 v63, 0x31e1, v95
	v_fma_f16 v37, v99, 0xb8d2, -v37
	v_fmac_f16_e32 v78, 0xba62, v29
	v_add_f16_e32 v36, v36, v38
	v_add_f16_e32 v38, v60, v64
	v_fmamk_f16 v60, v99, 0xbbdd, v63
	v_mul_f16_e32 v64, 0xbbdd, v31
	v_add_f16_e32 v30, v37, v30
	v_add_f16_e32 v37, v78, v65
	v_mul_f16_e32 v65, 0x3bb2, v95
	v_add_f16_e32 v60, v60, v67
	v_fmamk_f16 v67, v29, 0xb1e1, v64
	v_fma_f16 v63, v99, 0xbbdd, -v63
	v_fmac_f16_e32 v64, 0x31e1, v29
	v_fmamk_f16 v78, v99, 0xb461, v65
	v_mul_f16_e32 v98, 0xb461, v31
	v_add_f16_e32 v67, v67, v69
	v_add_f16_e32 v61, v63, v61
	;; [unrolled: 1-line block ×4, first 2 shown]
	v_fmamk_f16 v66, v29, 0xbbb2, v98
	v_mul_f16_e32 v69, 0x3964, v95
	v_fma_f16 v65, v99, 0xb461, -v65
	v_fmac_f16_e32 v98, 0x3bb2, v29
	v_mul_f16_e32 v70, 0x39e9, v31
	v_add_f16_e32 v66, v66, v68
	v_fmamk_f16 v68, v99, 0x39e9, v69
	v_add_f16_e32 v65, v65, v71
	v_add_f16_e32 v71, v98, v72
	v_fmamk_f16 v72, v29, 0xb964, v70
	v_mul_f16_e32 v78, 0xb5c8, v95
	v_fma_f16 v69, v99, 0x39e9, -v69
	v_add_f16_e32 v68, v68, v75
	v_fmac_f16_e32 v70, 0x3964, v29
	v_add_f16_e32 v72, v72, v76
	v_fmamk_f16 v75, v99, 0x3b76, v78
	v_mul_f16_e32 v76, 0x3b76, v31
	v_add_f16_e32 v69, v69, v74
	v_mul_f16_e32 v74, 0xbbf7, v95
	v_add_f16_e32 v92, v103, v92
	v_add_f16_e32 v70, v70, v77
	;; [unrolled: 1-line block ×3, first 2 shown]
	v_fmamk_f16 v77, v29, 0x35c8, v76
	v_fma_f16 v78, v99, 0x3b76, -v78
	v_fmac_f16_e32 v76, 0xb5c8, v29
	v_fmamk_f16 v79, v99, 0x2de8, v74
	v_mul_f16_e32 v98, 0x2de8, v31
	v_mul_f16_e32 v31, 0xbacd, v31
	v_add_f16_e32 v77, v77, v81
	v_add_f16_e32 v73, v78, v73
	;; [unrolled: 1-line block ×4, first 2 shown]
	v_fmamk_f16 v79, v29, 0x3bf7, v98
	v_mul_f16_e32 v81, 0xb836, v95
	v_fmamk_f16 v92, v29, 0x3836, v31
	v_sub_f16_e32 v94, v27, v32
	v_add_f16_e32 v27, v27, v32
	v_fmac_f16_e32 v98, 0xbbf7, v29
	v_add_f16_e32 v79, v79, v80
	v_fmamk_f16 v80, v99, 0xbacd, v81
	v_add_f16_e32 v59, v92, v59
	v_add_f16_e32 v92, v26, v33
	v_mul_f16_e32 v32, 0xbbf7, v94
	v_fma_f16 v81, v99, 0xbacd, -v81
	v_fmac_f16_e32 v31, 0xb836, v29
	v_sub_f16_e32 v26, v26, v33
	v_mul_f16_e32 v29, 0x2de8, v27
	v_fmamk_f16 v33, v92, 0x2de8, v32
	v_add_f16_e32 v3, v81, v3
	v_add_f16_e32 v2, v31, v2
	v_mul_f16_e32 v31, 0xb1e1, v94
	v_fmamk_f16 v81, v26, 0x3bf7, v29
	v_add_f16_e32 v28, v33, v28
	v_fma_f16 v32, v92, 0x2de8, -v32
	v_fmac_f16_e32 v29, 0xbbf7, v26
	v_fmamk_f16 v33, v92, 0xbbdd, v31
	v_add_f16_e32 v34, v81, v34
	v_mul_f16_e32 v81, 0xbbdd, v27
	v_add_f16_e32 v32, v32, v58
	v_add_f16_e32 v29, v29, v35
	;; [unrolled: 1-line block ×3, first 2 shown]
	v_mul_f16_e32 v35, 0x3bb2, v94
	v_fmamk_f16 v36, v26, 0x31e1, v81
	v_fma_f16 v31, v92, 0xbbdd, -v31
	v_fmac_f16_e32 v81, 0xb1e1, v26
	v_mul_f16_e32 v58, 0xb461, v27
	v_fmamk_f16 v95, v92, 0xb461, v35
	v_add_f16_e32 v36, v36, v38
	v_add_f16_e32 v30, v31, v30
	;; [unrolled: 1-line block ×3, first 2 shown]
	v_fmamk_f16 v37, v26, 0xbbb2, v58
	v_add_f16_e32 v38, v95, v60
	v_mul_f16_e32 v60, 0x35c8, v94
	v_fma_f16 v35, v92, 0xb461, -v35
	v_fmac_f16_e32 v58, 0x3bb2, v26
	v_add_f16_e32 v37, v37, v67
	v_mul_f16_e32 v67, 0x3b76, v27
	v_fmamk_f16 v81, v92, 0x3b76, v60
	v_add_f16_e32 v35, v35, v61
	v_add_f16_e32 v58, v58, v63
	v_mul_f16_e32 v61, 0xbb29, v94
	v_fmamk_f16 v63, v26, 0xb5c8, v67
	v_add_f16_e32 v64, v81, v64
	v_fma_f16 v60, v92, 0x3b76, -v60
	v_fmac_f16_e32 v67, 0x35c8, v26
	v_fmamk_f16 v81, v92, 0x3722, v61
	v_add_f16_e32 v63, v63, v66
	v_mul_f16_e32 v66, 0x3722, v27
	v_add_f16_e32 v60, v60, v65
	v_add_f16_e32 v65, v67, v71
	;; [unrolled: 1-line block ×3, first 2 shown]
	v_mul_f16_e32 v68, 0xb836, v94
	v_fmamk_f16 v71, v26, 0x3b29, v66
	v_fma_f16 v61, v92, 0x3722, -v61
	v_mul_f16_e32 v81, 0xbacd, v27
	v_fmac_f16_e32 v66, 0xbb29, v26
	v_fmamk_f16 v95, v92, 0xbacd, v68
	v_add_f16_e32 v71, v71, v72
	v_add_f16_e32 v61, v61, v69
	v_fmamk_f16 v69, v26, 0x3836, v81
	v_mul_f16_e32 v72, 0x3a62, v94
	v_fma_f16 v68, v92, 0xbacd, -v68
	v_fmac_f16_e32 v81, 0xb836, v26
	v_fma_f16 v74, v99, 0x2de8, -v74
	v_add_f16_e32 v66, v66, v70
	v_add_f16_e32 v70, v95, v75
	;; [unrolled: 1-line block ×3, first 2 shown]
	v_mul_f16_e32 v75, 0xb8d2, v27
	v_fmamk_f16 v77, v92, 0xb8d2, v72
	v_add_f16_e32 v68, v68, v73
	v_add_f16_e32 v73, v81, v76
	v_mul_f16_e32 v76, 0x3964, v94
	v_add_f16_e32 v74, v74, v93
	v_add_f16_e32 v93, v98, v96
	;; [unrolled: 1-line block ×3, first 2 shown]
	v_fmamk_f16 v81, v26, 0xba62, v75
	v_add_f16_e32 v77, v77, v78
	v_fma_f16 v72, v92, 0xb8d2, -v72
	v_fmac_f16_e32 v75, 0x3a62, v26
	v_fmamk_f16 v78, v92, 0x39e9, v76
	v_mul_f16_e32 v27, 0x39e9, v27
	v_add_f16_e32 v79, v81, v79
	v_add_f16_e32 v72, v72, v74
	;; [unrolled: 1-line block ×4, first 2 shown]
	v_sub_f16_e32 v78, v24, v7
	v_add_f16_e32 v7, v24, v7
	v_fmamk_f16 v80, v26, 0xb964, v27
	v_fma_f16 v76, v92, 0x39e9, -v76
	v_add_f16_e32 v24, v23, v25
	v_mul_f16_e32 v81, 0xbbb2, v78
	v_fmac_f16_e32 v27, 0x3964, v26
	v_sub_f16_e32 v23, v23, v25
	v_mul_f16_e32 v25, 0xb461, v7
	v_add_f16_e32 v26, v80, v59
	v_fmamk_f16 v59, v24, 0xb461, v81
	v_add_f16_e32 v3, v76, v3
	v_add_f16_e32 v2, v27, v2
	v_fmamk_f16 v27, v23, 0x3bb2, v25
	v_mul_f16_e32 v76, 0x3836, v78
	v_fmac_f16_e32 v25, 0xbbb2, v23
	v_add_f16_e32 v28, v59, v28
	v_fma_f16 v59, v24, 0xb461, -v81
	v_add_f16_e32 v27, v27, v34
	v_fmamk_f16 v34, v24, 0xbacd, v76
	v_mul_f16_e32 v80, 0xbacd, v7
	v_add_f16_e32 v25, v25, v29
	v_mul_f16_e32 v29, 0x3964, v78
	v_add_f16_e32 v32, v59, v32
	v_add_f16_e32 v33, v34, v33
	v_fmamk_f16 v34, v23, 0xb836, v80
	v_fma_f16 v59, v24, 0xbacd, -v76
	v_fmamk_f16 v76, v24, 0x39e9, v29
	v_mul_f16_e32 v81, 0x39e9, v7
	v_fmac_f16_e32 v80, 0x3836, v23
	v_add_f16_e32 v34, v34, v36
	v_add_f16_e32 v30, v59, v30
	;; [unrolled: 1-line block ×3, first 2 shown]
	v_fmamk_f16 v38, v23, 0xb964, v81
	v_mul_f16_e32 v59, 0xbb29, v78
	v_fma_f16 v29, v24, 0x39e9, -v29
	v_fmac_f16_e32 v81, 0x3964, v23
	v_mul_f16_e32 v76, 0x3722, v7
	v_add_f16_e32 v31, v80, v31
	v_add_f16_e32 v37, v38, v37
	v_fmamk_f16 v38, v24, 0x3722, v59
	v_add_f16_e32 v29, v29, v35
	v_add_f16_e32 v35, v81, v58
	v_fmamk_f16 v58, v23, 0x3b29, v76
	v_mul_f16_e32 v80, 0xb1e1, v78
	v_fma_f16 v59, v24, 0x3722, -v59
	v_fmac_f16_e32 v76, 0xbb29, v23
	v_add_f16_e32 v38, v38, v64
	v_add_f16_e32 v58, v58, v63
	v_fmamk_f16 v63, v24, 0xbbdd, v80
	v_mul_f16_e32 v64, 0xbbdd, v7
	v_add_f16_e32 v59, v59, v60
	v_add_f16_e32 v60, v76, v65
	v_mul_f16_e32 v65, 0x3bf7, v78
	v_add_f16_e32 v63, v63, v67
	v_fmamk_f16 v67, v23, 0x31e1, v64
	v_fma_f16 v76, v24, 0xbbdd, -v80
	v_fmac_f16_e32 v64, 0xb1e1, v23
	v_fmamk_f16 v80, v24, 0x2de8, v65
	v_mul_f16_e32 v81, 0x2de8, v7
	v_add_f16_e32 v67, v67, v71
	v_mul_f16_e32 v71, 0xb5c8, v78
	v_add_f16_e32 v64, v64, v66
	v_add_f16_e32 v66, v80, v70
	v_fmamk_f16 v70, v23, 0xbbf7, v81
	v_add_f16_e32 v61, v76, v61
	v_fma_f16 v65, v24, 0x2de8, -v65
	v_mul_f16_e32 v76, 0x3b76, v7
	v_mul_f16_e32 v78, 0xba62, v78
	v_add_f16_e32 v69, v70, v69
	v_fmamk_f16 v70, v24, 0x3b76, v71
	v_fma_f16 v71, v24, 0x3b76, -v71
	v_add_f16_e32 v65, v65, v68
	v_fmamk_f16 v68, v23, 0x35c8, v76
	v_fmac_f16_e32 v76, 0xb5c8, v23
	v_add_f16_e32 v70, v70, v77
	v_fmamk_f16 v77, v24, 0xb8d2, v78
	v_add_f16_e32 v71, v71, v72
	v_sub_f16_e32 v72, v15, v6
	v_add_f16_e32 v68, v68, v79
	v_mul_f16_e32 v7, 0xb8d2, v7
	v_add_f16_e32 v75, v77, v75
	v_add_f16_e32 v77, v14, v22
	v_mul_f16_e32 v79, 0xba62, v72
	v_add_f16_e32 v6, v15, v6
	v_fmac_f16_e32 v81, 0x3bf7, v23
	v_add_f16_e32 v74, v76, v74
	v_fmamk_f16 v76, v23, 0x3a62, v7
	v_fma_f16 v15, v24, 0xb8d2, -v78
	v_fmac_f16_e32 v7, 0xba62, v23
	v_sub_f16_e32 v14, v14, v22
	v_fmamk_f16 v22, v77, 0xb8d2, v79
	v_mul_f16_e32 v23, 0xb8d2, v6
	v_add_f16_e32 v24, v76, v26
	v_add_f16_e32 v3, v15, v3
	;; [unrolled: 1-line block ×4, first 2 shown]
	v_fmamk_f16 v15, v14, 0x3a62, v23
	v_mul_f16_e32 v22, 0x3bb2, v72
	v_fma_f16 v26, v77, 0xb8d2, -v79
	v_fmac_f16_e32 v23, 0xba62, v14
	v_mul_f16_e32 v28, 0xb461, v6
	v_add_f16_e32 v15, v15, v27
	v_fmamk_f16 v27, v77, 0xb461, v22
	v_add_f16_e32 v26, v26, v32
	v_add_f16_e32 v23, v23, v25
	v_fmamk_f16 v25, v14, 0xbbb2, v28
	v_mul_f16_e32 v32, 0xb5c8, v72
	v_fma_f16 v22, v77, 0xb461, -v22
	v_add_f16_e32 v27, v27, v33
	v_fmac_f16_e32 v28, 0x3bb2, v14
	v_add_f16_e32 v25, v25, v34
	v_fmamk_f16 v33, v77, 0x3b76, v32
	v_mul_f16_e32 v34, 0x3b76, v6
	v_add_f16_e32 v22, v22, v30
	v_mul_f16_e32 v30, 0xb836, v72
	v_add_f16_e32 v28, v28, v31
	v_add_f16_e32 v31, v33, v36
	v_fmamk_f16 v33, v14, 0x35c8, v34
	v_fma_f16 v32, v77, 0x3b76, -v32
	v_fmac_f16_e32 v34, 0xb5c8, v14
	v_fmamk_f16 v36, v77, 0xbacd, v30
	v_mul_f16_e32 v76, 0xbacd, v6
	v_add_f16_e32 v33, v33, v37
	v_add_f16_e32 v29, v32, v29
	;; [unrolled: 1-line block ×4, first 2 shown]
	v_fmamk_f16 v35, v14, 0x3836, v76
	v_mul_f16_e32 v36, 0x3bf7, v72
	v_fma_f16 v30, v77, 0xbacd, -v30
	v_fmac_f16_e32 v76, 0xb836, v14
	v_mul_f16_e32 v37, 0x2de8, v6
	v_add_f16_e32 v35, v35, v58
	v_fmamk_f16 v38, v77, 0x2de8, v36
	v_add_f16_e32 v30, v30, v59
	v_add_f16_e32 v58, v76, v60
	v_fmamk_f16 v59, v14, 0xbbf7, v37
	v_mul_f16_e32 v60, 0xb964, v72
	v_fma_f16 v36, v77, 0x2de8, -v36
	v_add_f16_e32 v38, v38, v63
	v_fmac_f16_e32 v37, 0x3bf7, v14
	v_add_f16_e32 v59, v59, v67
	v_fmamk_f16 v63, v77, 0x39e9, v60
	v_mul_f16_e32 v67, 0x39e9, v6
	v_add_f16_e32 v36, v36, v61
	v_mul_f16_e32 v61, 0xb1e1, v72
	v_add_f16_e32 v37, v37, v64
	v_add_f16_e32 v63, v63, v66
	v_fmamk_f16 v64, v14, 0x3964, v67
	v_mul_f16_e32 v76, 0xbbdd, v6
	v_fmamk_f16 v66, v77, 0xbbdd, v61
	v_mul_f16_e32 v6, 0x3722, v6
	v_add_f16_e32 v73, v81, v73
	v_fma_f16 v60, v77, 0x39e9, -v60
	v_fmac_f16_e32 v67, 0xb964, v14
	v_add_f16_e32 v64, v64, v69
	v_add_f16_e32 v66, v66, v70
	v_mul_f16_e32 v69, 0x3b29, v72
	v_fmamk_f16 v70, v14, 0xbb29, v6
	v_sub_f16_e32 v72, v13, v5
	v_add_f16_e32 v60, v60, v65
	v_add_f16_e32 v65, v67, v73
	v_fmamk_f16 v67, v14, 0x31e1, v76
	v_add_f16_e32 v24, v70, v24
	v_add_f16_e32 v70, v12, v11
	;; [unrolled: 1-line block ×3, first 2 shown]
	v_mul_f16_e32 v13, 0xb836, v72
	v_fmac_f16_e32 v6, 0x3b29, v14
	v_fmac_f16_e32 v76, 0xb1e1, v14
	v_add_f16_e32 v67, v67, v68
	v_fmamk_f16 v68, v77, 0x3722, v69
	v_fma_f16 v69, v77, 0x3722, -v69
	v_sub_f16_e32 v11, v12, v11
	v_mul_f16_e32 v12, 0xbacd, v5
	v_fmamk_f16 v14, v70, 0xbacd, v13
	v_add_f16_e32 v2, v6, v2
	v_mul_f16_e32 v6, 0x3b29, v72
	v_add_f16_e32 v3, v69, v3
	v_fmamk_f16 v69, v11, 0x3836, v12
	v_add_f16_e32 v7, v14, v7
	v_fmac_f16_e32 v12, 0xb836, v11
	v_fmamk_f16 v14, v70, 0x3722, v6
	v_fma_f16 v13, v70, 0xbacd, -v13
	v_add_f16_e32 v15, v69, v15
	v_mul_f16_e32 v69, 0x3722, v5
	v_add_f16_e32 v12, v12, v23
	v_add_f16_e32 v14, v14, v27
	v_mul_f16_e32 v23, 0xbbf7, v72
	v_fma_f16 v6, v70, 0x3722, -v6
	v_mul_f16_e32 v27, 0x2de8, v5
	v_add_f16_e32 v13, v13, v26
	v_fmamk_f16 v26, v11, 0xbb29, v69
	v_fmac_f16_e32 v69, 0x3b29, v11
	v_fmamk_f16 v73, v70, 0x2de8, v23
	v_add_f16_e32 v6, v6, v22
	v_fmamk_f16 v22, v11, 0x3bf7, v27
	v_add_f16_e32 v25, v26, v25
	v_add_f16_e32 v26, v69, v28
	v_add_f16_e32 v28, v73, v31
	v_mul_f16_e32 v31, 0x3a62, v72
	v_fma_f16 v23, v70, 0x2de8, -v23
	v_fmac_f16_e32 v27, 0xbbf7, v11
	v_add_f16_e32 v33, v22, v33
	v_mul_f16_e32 v22, 0xb8d2, v5
	v_fmamk_f16 v69, v70, 0xb8d2, v31
	v_add_f16_e32 v29, v23, v29
	v_add_f16_e32 v27, v27, v32
	v_mul_f16_e32 v23, 0xb5c8, v72
	v_fmamk_f16 v32, v11, 0xba62, v22
	v_add_f16_e32 v34, v69, v34
	v_fma_f16 v31, v70, 0xb8d2, -v31
	v_fmac_f16_e32 v22, 0x3a62, v11
	v_fmamk_f16 v69, v70, 0x3b76, v23
	v_add_f16_e32 v32, v32, v35
	v_mul_f16_e32 v35, 0x3b76, v5
	v_add_f16_e32 v30, v31, v30
	v_add_f16_e32 v31, v22, v58
	;; [unrolled: 1-line block ×3, first 2 shown]
	v_mul_f16_e32 v22, 0xb1e1, v72
	v_fmamk_f16 v58, v11, 0x35c8, v35
	v_fma_f16 v23, v70, 0x3b76, -v23
	v_mul_f16_e32 v69, 0xbbdd, v5
	v_fmac_f16_e32 v35, 0xb5c8, v11
	v_fmamk_f16 v73, v70, 0xbbdd, v22
	v_add_f16_e32 v58, v58, v59
	v_add_f16_e32 v36, v23, v36
	v_fmamk_f16 v23, v11, 0x31e1, v69
	v_mul_f16_e32 v59, 0x3964, v72
	v_fma_f16 v22, v70, 0xbbdd, -v22
	v_add_f16_e32 v35, v35, v37
	v_add_f16_e32 v37, v73, v63
	;; [unrolled: 1-line block ×3, first 2 shown]
	v_fmamk_f16 v64, v70, 0x39e9, v59
	v_add_f16_e32 v60, v22, v60
	v_mul_f16_e32 v22, 0xbbb2, v72
	v_fma_f16 v61, v77, 0xbbdd, -v61
	v_add_f16_e32 v68, v68, v75
	v_fmac_f16_e32 v69, 0xb1e1, v11
	v_mul_f16_e32 v23, 0x39e9, v5
	v_add_f16_e32 v64, v64, v66
	v_fmamk_f16 v66, v70, 0xb461, v22
	v_add_f16_e32 v61, v61, v71
	v_add_f16_e32 v71, v76, v74
	;; [unrolled: 1-line block ×3, first 2 shown]
	v_fmamk_f16 v69, v11, 0xb964, v23
	v_fma_f16 v59, v70, 0x39e9, -v59
	v_fmac_f16_e32 v23, 0x3964, v11
	v_mul_f16_e32 v5, 0xb461, v5
	v_add_f16_e32 v66, v66, v68
	v_sub_f16_e32 v68, v10, v4
	v_add_f16_e32 v4, v10, v4
	v_add_f16_e32 v67, v69, v67
	;; [unrolled: 1-line block ×4, first 2 shown]
	v_fmamk_f16 v23, v11, 0x3bb2, v5
	v_add_f16_e32 v10, v8, v9
	v_mul_f16_e32 v69, 0xb1e1, v68
	v_fmac_f16_e32 v5, 0xbbb2, v11
	v_sub_f16_e32 v8, v8, v9
	v_mul_f16_e32 v9, 0xbbdd, v4
	v_fma_f16 v22, v70, 0xb461, -v22
	v_add_f16_e32 v11, v23, v24
	v_fmamk_f16 v23, v10, 0xbbdd, v69
	v_add_f16_e32 v2, v5, v2
	v_fmamk_f16 v5, v8, 0x31e1, v9
	v_mul_f16_e32 v24, 0x35c8, v68
	v_fmac_f16_e32 v9, 0xb1e1, v8
	v_add_f16_e32 v3, v22, v3
	v_add_f16_e32 v7, v23, v7
	v_fma_f16 v22, v10, 0xbbdd, -v69
	v_add_f16_e32 v5, v5, v15
	v_fmamk_f16 v15, v10, 0x3b76, v24
	v_mul_f16_e32 v69, 0x3b76, v4
	v_add_f16_e32 v23, v9, v12
	v_mul_f16_e32 v9, 0xb836, v68
	v_add_f16_e32 v22, v22, v13
	v_add_f16_e32 v12, v15, v14
	v_fmamk_f16 v13, v8, 0xb5c8, v69
	v_fma_f16 v14, v10, 0x3b76, -v24
	v_fmac_f16_e32 v69, 0x35c8, v8
	v_fmamk_f16 v15, v10, 0xbacd, v9
	v_mul_f16_e32 v24, 0xbacd, v4
	v_add_f16_e32 v13, v13, v25
	v_add_f16_e32 v6, v14, v6
	;; [unrolled: 1-line block ×4, first 2 shown]
	v_fmamk_f16 v25, v8, 0x3836, v24
	v_mul_f16_e32 v26, 0x3964, v68
	v_fma_f16 v9, v10, 0xbacd, -v9
	v_fmac_f16_e32 v24, 0xb836, v8
	v_mul_f16_e32 v28, 0x39e9, v4
	v_add_f16_e32 v25, v25, v33
	v_fmamk_f16 v33, v10, 0x39e9, v26
	v_add_f16_e32 v9, v9, v29
	v_add_f16_e32 v24, v24, v27
	v_fmamk_f16 v27, v8, 0xb964, v28
	v_mul_f16_e32 v29, 0xba62, v68
	v_fma_f16 v26, v10, 0x39e9, -v26
	v_add_f16_e32 v33, v33, v34
	v_fmac_f16_e32 v28, 0x3964, v8
	v_add_f16_e32 v27, v27, v32
	v_fmamk_f16 v32, v10, 0xb8d2, v29
	v_mul_f16_e32 v34, 0xb8d2, v4
	v_add_f16_e32 v26, v26, v30
	v_mul_f16_e32 v30, 0x3b29, v68
	v_add_f16_e32 v28, v28, v31
	v_add_f16_e32 v31, v32, v38
	v_fmamk_f16 v32, v8, 0x3a62, v34
	v_fmac_f16_e32 v34, 0xba62, v8
	v_fmamk_f16 v38, v10, 0x3722, v30
	v_fma_f16 v29, v10, 0xb8d2, -v29
	v_mul_f16_e32 v69, 0x3722, v4
	v_add_f16_e32 v32, v32, v58
	v_add_f16_e32 v34, v34, v35
	v_add_f16_e32 v35, v38, v37
	v_mul_f16_e32 v37, 0xbbb2, v68
	v_add_f16_e32 v29, v29, v36
	v_fmamk_f16 v36, v8, 0xbb29, v69
	v_mul_f16_e32 v38, 0xb461, v4
	v_fma_f16 v30, v10, 0x3722, -v30
	v_fmamk_f16 v58, v10, 0xb461, v37
	v_fmac_f16_e32 v69, 0x3b29, v8
	v_fma_f16 v37, v10, 0xb461, -v37
	v_mul_f16_e32 v4, 0x2de8, v4
	v_add_f16_e32 v36, v36, v63
	v_add_f16_e32 v58, v58, v64
	v_mul_f16_e32 v64, 0x3bf7, v68
	v_fmamk_f16 v63, v8, 0x3bb2, v38
	v_add_f16_e32 v30, v30, v60
	v_add_f16_e32 v60, v69, v65
	;; [unrolled: 1-line block ×3, first 2 shown]
	v_fmac_f16_e32 v38, 0xbbb2, v8
	v_fmamk_f16 v59, v10, 0x2de8, v64
	v_fmamk_f16 v65, v8, 0xbbf7, v4
	v_fma_f16 v10, v10, 0x2de8, -v64
	v_fmac_f16_e32 v4, 0x3bf7, v8
	v_add_f16_e32 v63, v63, v67
	v_add_f16_e32 v8, v38, v61
	;; [unrolled: 1-line block ×6, first 2 shown]
	v_pack_b32_f16 v0, v0, v1
	v_pack_b32_f16 v1, v7, v5
	;; [unrolled: 1-line block ×8, first 2 shown]
	ds_write2_b32 v83, v0, v1 offset1:34
	ds_write2_b32 v83, v4, v5 offset0:68 offset1:102
	ds_write2_b32 v83, v7, v10 offset0:136 offset1:170
	;; [unrolled: 1-line block ×3, first 2 shown]
	v_pack_b32_f16 v0, v38, v11
	v_pack_b32_f16 v1, v3, v2
	v_add_nc_u32_e32 v2, 0x400, v83
	v_pack_b32_f16 v3, v37, v8
	v_pack_b32_f16 v4, v30, v60
	;; [unrolled: 1-line block ×7, first 2 shown]
	ds_write2_b32 v2, v0, v1 offset0:16 offset1:50
	ds_write2_b32 v2, v3, v4 offset0:84 offset1:118
	;; [unrolled: 1-line block ×4, first 2 shown]
	ds_write_b32 v83, v9 offset:2176
	v_add_nc_u32_e32 v0, 0xa00, v42
	v_add_nc_u32_e32 v8, 0xe00, v42
	s_waitcnt lgkmcnt(0)
	s_barrier
	buffer_gl0_inv
	ds_read2_b32 v[6:7], v42 offset1:68
	ds_read2_b32 v[12:13], v20 offset0:66 offset1:134
	ds_read2_b32 v[2:3], v42 offset0:136 offset1:204
	;; [unrolled: 1-line block ×7, first 2 shown]
	v_add_nc_u32_e32 v21, 0x660, v42
	v_add_nc_u32_e32 v20, 0x770, v42
	s_and_saveexec_b32 s0, vcc_lo
	s_cbranch_execz .LBB0_15
; %bb.14:
	ds_read_b32 v22, v42 offset:2176
	ds_read_b32 v17, v42 offset:4488
	s_waitcnt lgkmcnt(1)
	v_lshrrev_b32_e32 v23, 16, v22
	s_waitcnt lgkmcnt(0)
	v_lshrrev_b32_e32 v18, 16, v17
.LBB0_15:
	s_or_b32 exec_lo, exec_lo, s0
	s_waitcnt lgkmcnt(6)
	v_lshrrev_b32_e32 v25, 16, v12
	v_lshrrev_b32_e32 v27, 16, v13
	s_waitcnt lgkmcnt(4)
	v_lshrrev_b32_e32 v29, 16, v14
	v_lshrrev_b32_e32 v31, 16, v15
	s_waitcnt lgkmcnt(2)
	v_lshrrev_b32_e32 v35, 16, v11
	v_mul_f16_sdwa v37, v89, v25 dst_sel:DWORD dst_unused:UNUSED_PAD src0_sel:WORD_1 src1_sel:DWORD
	v_mul_f16_sdwa v58, v89, v12 dst_sel:DWORD dst_unused:UNUSED_PAD src0_sel:WORD_1 src1_sel:DWORD
	;; [unrolled: 1-line block ×4, first 2 shown]
	v_lshrrev_b32_e32 v33, 16, v10
	v_fmac_f16_e32 v37, v89, v12
	v_mul_f16_sdwa v12, v86, v27 dst_sel:DWORD dst_unused:UNUSED_PAD src0_sel:WORD_1 src1_sel:DWORD
	s_waitcnt lgkmcnt(0)
	v_lshrrev_b32_e32 v38, 16, v8
	v_fma_f16 v25, v89, v25, -v58
	v_mul_f16_sdwa v58, v86, v13 dst_sel:DWORD dst_unused:UNUSED_PAD src0_sel:WORD_1 src1_sel:DWORD
	v_fmac_f16_e32 v61, v87, v14
	v_fmac_f16_e32 v12, v86, v13
	v_mul_f16_sdwa v13, v84, v31 dst_sel:DWORD dst_unused:UNUSED_PAD src0_sel:WORD_1 src1_sel:DWORD
	v_fma_f16 v14, v87, v29, -v63
	v_mul_f16_sdwa v29, v84, v15 dst_sel:DWORD dst_unused:UNUSED_PAD src0_sel:WORD_1 src1_sel:DWORD
	v_mul_f16_sdwa v63, v91, v35 dst_sel:DWORD dst_unused:UNUSED_PAD src0_sel:WORD_1 src1_sel:DWORD
	v_lshrrev_b32_e32 v24, 16, v6
	v_fma_f16 v27, v86, v27, -v58
	v_fmac_f16_e32 v13, v84, v15
	v_mul_f16_sdwa v15, v85, v33 dst_sel:DWORD dst_unused:UNUSED_PAD src0_sel:WORD_1 src1_sel:DWORD
	v_mul_f16_sdwa v58, v85, v10 dst_sel:DWORD dst_unused:UNUSED_PAD src0_sel:WORD_1 src1_sel:DWORD
	v_fma_f16 v29, v84, v31, -v29
	v_mul_f16_sdwa v31, v91, v11 dst_sel:DWORD dst_unused:UNUSED_PAD src0_sel:WORD_1 src1_sel:DWORD
	v_fmac_f16_e32 v63, v91, v11
	v_mul_f16_sdwa v11, v88, v38 dst_sel:DWORD dst_unused:UNUSED_PAD src0_sel:WORD_1 src1_sel:DWORD
	v_lshrrev_b32_e32 v26, 16, v7
	v_lshrrev_b32_e32 v60, 16, v9
	;; [unrolled: 1-line block ×3, first 2 shown]
	v_fmac_f16_e32 v15, v85, v10
	v_fma_f16 v10, v85, v33, -v58
	v_mul_f16_sdwa v33, v88, v8 dst_sel:DWORD dst_unused:UNUSED_PAD src0_sel:WORD_1 src1_sel:DWORD
	v_fmac_f16_e32 v11, v88, v8
	v_sub_f16_e32 v8, v6, v37
	v_sub_f16_e32 v25, v24, v25
	v_lshrrev_b32_e32 v30, 16, v3
	v_sub_f16_e32 v12, v7, v12
	v_sub_f16_e32 v27, v26, v27
	v_lshrrev_b32_e32 v32, 16, v4
	v_fma_f16 v31, v91, v35, -v31
	v_mul_f16_sdwa v35, v90, v60 dst_sel:DWORD dst_unused:UNUSED_PAD src0_sel:WORD_1 src1_sel:DWORD
	v_mul_f16_sdwa v58, v90, v9 dst_sel:DWORD dst_unused:UNUSED_PAD src0_sel:WORD_1 src1_sel:DWORD
	v_sub_f16_e32 v37, v2, v61
	v_sub_f16_e32 v14, v28, v14
	v_lshrrev_b32_e32 v34, 16, v5
	v_fma_f16 v6, v6, 2.0, -v8
	v_fma_f16 v24, v24, 2.0, -v25
	v_sub_f16_e32 v13, v3, v13
	v_sub_f16_e32 v29, v30, v29
	v_fma_f16 v7, v7, 2.0, -v12
	v_fma_f16 v26, v26, 2.0, -v27
	v_lshrrev_b32_e32 v36, 16, v0
	v_lshrrev_b32_e32 v59, 16, v1
	v_fma_f16 v33, v88, v38, -v33
	v_fmac_f16_e32 v35, v90, v9
	v_fma_f16 v9, v90, v60, -v58
	v_sub_f16_e32 v15, v4, v15
	v_sub_f16_e32 v10, v32, v10
	v_fma_f16 v2, v2, 2.0, -v37
	v_fma_f16 v28, v28, 2.0, -v14
	v_sub_f16_e32 v38, v5, v63
	v_sub_f16_e32 v31, v34, v31
	v_pack_b32_f16 v6, v6, v24
	v_fma_f16 v3, v3, 2.0, -v13
	v_fma_f16 v30, v30, 2.0, -v29
	v_pack_b32_f16 v8, v8, v25
	v_pack_b32_f16 v7, v7, v26
	v_fma_f16 v4, v4, 2.0, -v15
	v_fma_f16 v32, v32, 2.0, -v10
	v_sub_f16_e32 v11, v0, v11
	v_sub_f16_e32 v33, v36, v33
	;; [unrolled: 1-line block ×4, first 2 shown]
	v_pack_b32_f16 v12, v12, v27
	v_pack_b32_f16 v2, v2, v28
	v_fma_f16 v5, v5, 2.0, -v38
	v_fma_f16 v34, v34, 2.0, -v31
	ds_write_b32 v42, v6
	ds_write_b32 v82, v8 offset:2312
	ds_write_b32 v42, v7 offset:272
	;; [unrolled: 1-line block ×4, first 2 shown]
	v_pack_b32_f16 v2, v37, v14
	v_pack_b32_f16 v3, v3, v30
	;; [unrolled: 1-line block ×3, first 2 shown]
	v_fma_f16 v0, v0, 2.0, -v11
	v_fma_f16 v36, v36, 2.0, -v33
	;; [unrolled: 1-line block ×4, first 2 shown]
	v_pack_b32_f16 v4, v4, v32
	v_pack_b32_f16 v7, v15, v10
	ds_write_b32 v82, v2 offset:2856
	ds_write_b32 v42, v3 offset:816
	;; [unrolled: 1-line block ×5, first 2 shown]
	v_pack_b32_f16 v2, v5, v34
	v_pack_b32_f16 v3, v38, v31
	;; [unrolled: 1-line block ×6, first 2 shown]
	ds_write_b32 v42, v2 offset:1360
	ds_write_b32 v82, v3 offset:3672
	;; [unrolled: 1-line block ×3, first 2 shown]
	ds_write2_b32 v19, v0, v1 offset0:152 offset1:220
	ds_write_b32 v20, v5 offset:2312
	s_and_saveexec_b32 s0, vcc_lo
	s_cbranch_execz .LBB0_17
; %bb.16:
	v_mul_f16_sdwa v0, v62, v18 dst_sel:DWORD dst_unused:UNUSED_PAD src0_sel:WORD_1 src1_sel:DWORD
	v_mul_f16_sdwa v1, v62, v17 dst_sel:DWORD dst_unused:UNUSED_PAD src0_sel:WORD_1 src1_sel:DWORD
	v_fmac_f16_e32 v0, v62, v17
	v_fma_f16 v1, v62, v18, -v1
	v_sub_f16_e32 v0, v22, v0
	v_sub_f16_e32 v1, v23, v1
	v_fma_f16 v2, v22, 2.0, -v0
	v_fma_f16 v3, v23, 2.0, -v1
	v_pack_b32_f16 v0, v0, v1
	v_pack_b32_f16 v2, v2, v3
	ds_write_b32 v42, v2 offset:2176
	ds_write_b32 v82, v0 offset:4488
.LBB0_17:
	s_or_b32 exec_lo, exec_lo, s0
	s_waitcnt lgkmcnt(0)
	s_barrier
	buffer_gl0_inv
	ds_read2_b32 v[0:1], v42 offset1:68
	ds_read2_b32 v[2:3], v42 offset0:136 offset1:204
	s_mov_b32 s6, 0xd10d4986
	s_mov_b32 s7, 0x3f4c5894
	s_mul_i32 s3, s8, 0x110
	s_waitcnt lgkmcnt(1)
	v_lshrrev_b32_e32 v4, 16, v0
	v_mul_f16_sdwa v5, v56, v0 dst_sel:DWORD dst_unused:UNUSED_PAD src0_sel:WORD_1 src1_sel:DWORD
	v_lshrrev_b32_e32 v6, 16, v1
	v_mul_f16_sdwa v7, v57, v1 dst_sel:DWORD dst_unused:UNUSED_PAD src0_sel:WORD_1 src1_sel:DWORD
	s_waitcnt lgkmcnt(0)
	v_lshrrev_b32_e32 v19, 16, v2
	v_mul_f16_sdwa v8, v56, v4 dst_sel:DWORD dst_unused:UNUSED_PAD src0_sel:WORD_1 src1_sel:DWORD
	v_fma_f16 v4, v56, v4, -v5
	v_mul_f16_sdwa v12, v57, v6 dst_sel:DWORD dst_unused:UNUSED_PAD src0_sel:WORD_1 src1_sel:DWORD
	v_fma_f16 v5, v57, v6, -v7
	v_mul_f16_sdwa v13, v54, v19 dst_sel:DWORD dst_unused:UNUSED_PAD src0_sel:WORD_1 src1_sel:DWORD
	v_fmac_f16_e32 v8, v56, v0
	v_cvt_f32_f16_e32 v0, v4
	v_fmac_f16_e32 v12, v57, v1
	v_cvt_f32_f16_e32 v9, v5
	;; [unrolled: 2-line block ×3, first 2 shown]
	v_cvt_f64_f32_e32 v[4:5], v0
	v_cvt_f32_f16_e32 v12, v12
	v_cvt_f64_f32_e32 v[8:9], v9
	v_cvt_f32_f16_e32 v17, v13
	v_cvt_f64_f32_e32 v[0:1], v10
	v_mad_u64_u32 v[6:7], null, s10, v16, 0
	v_cvt_f64_f32_e32 v[12:13], v12
	v_mad_u64_u32 v[10:11], null, s8, v55, 0
	v_mul_f16_sdwa v2, v54, v2 dst_sel:DWORD dst_unused:UNUSED_PAD src0_sel:WORD_1 src1_sel:DWORD
	v_fma_f16 v2, v54, v19, -v2
	v_mul_f64 v[4:5], v[4:5], s[6:7]
	v_mad_u64_u32 v[14:15], null, s11, v16, v[7:8]
	v_mul_f64 v[8:9], v[8:9], s[6:7]
	v_mul_f64 v[0:1], v[0:1], s[6:7]
	v_cvt_f64_f32_e32 v[15:16], v17
	v_mad_u64_u32 v[17:18], null, s9, v55, v[11:12]
	v_mul_f64 v[12:13], v[12:13], s[6:7]
	v_mov_b32_e32 v7, v14
	v_lshlrev_b64 v[6:7], 2, v[6:7]
	v_mov_b32_e32 v11, v17
	v_add_co_u32 v14, vcc_lo, s4, v6
	v_and_or_b32 v4, 0x1ff, v5, v4
	v_add_co_ci_u32_e32 v17, vcc_lo, s5, v7, vcc_lo
	v_and_or_b32 v8, 0x1ff, v9, v8
	v_and_or_b32 v0, 0x1ff, v1, v0
	v_cmp_ne_u32_e32 vcc_lo, 0, v4
	v_lshrrev_b32_e32 v21, 8, v1
	v_bfe_u32 v22, v1, 20, 11
	v_and_or_b32 v12, 0x1ff, v13, v12
	v_mul_f64 v[6:7], v[15:16], s[6:7]
	v_cndmask_b32_e64 v4, 0, 1, vcc_lo
	v_cmp_ne_u32_e32 vcc_lo, 0, v8
	v_lshrrev_b32_e32 v15, 8, v5
	v_bfe_u32 v16, v5, 20, 11
	v_bfe_u32 v20, v9, 20, 11
	v_sub_nc_u32_e32 v27, 0x3f1, v22
	v_cndmask_b32_e64 v8, 0, 1, vcc_lo
	v_cmp_ne_u32_e32 vcc_lo, 0, v0
	v_lshrrev_b32_e32 v18, 8, v9
	v_sub_nc_u32_e32 v23, 0x3f1, v16
	v_lshrrev_b32_e32 v24, 8, v13
	v_sub_nc_u32_e32 v26, 0x3f1, v20
	v_cndmask_b32_e64 v0, 0, 1, vcc_lo
	v_cmp_ne_u32_e32 vcc_lo, 0, v12
	v_and_or_b32 v4, 0xffe, v15, v4
	v_add_nc_u32_e32 v16, 0xfffffc10, v16
	v_med3_i32 v15, v23, 0, 13
	v_and_or_b32 v0, 0xffe, v21, v0
	v_cndmask_b32_e64 v12, 0, 1, vcc_lo
	v_med3_i32 v21, v27, 0, 13
	v_and_or_b32 v8, 0xffe, v18, v8
	v_med3_i32 v18, v26, 0, 13
	v_or_b32_e32 v27, 0x1000, v0
	v_or_b32_e32 v26, 0x1000, v4
	v_cmp_ne_u32_e32 vcc_lo, 0, v4
	v_and_or_b32 v12, 0xffe, v24, v12
	v_add_nc_u32_e32 v22, 0xfffffc10, v22
	v_lshrrev_b32_e32 v24, v21, v27
	v_lshl_or_b32 v28, v16, 12, v4
	v_cndmask_b32_e64 v4, 0, 1, vcc_lo
	v_lshrrev_b32_e32 v29, v15, v26
	v_cmp_ne_u32_e32 vcc_lo, 0, v0
	v_lshlrev_b32_e32 v21, v21, v24
	v_bfe_u32 v25, v13, 20, 11
	v_lshl_or_b32 v31, v22, 12, v0
	v_lshlrev_b32_e32 v15, v15, v29
	v_cndmask_b32_e64 v0, 0, 1, vcc_lo
	v_cmp_ne_u32_e32 vcc_lo, v21, v27
	v_sub_nc_u32_e32 v23, 0x3f1, v25
	v_or_b32_e32 v32, 0x1000, v12
	v_add_nc_u32_e32 v25, 0xfffffc10, v25
	v_or_b32_e32 v30, 0x1000, v8
	v_cndmask_b32_e64 v21, 0, 1, vcc_lo
	v_cmp_ne_u32_e32 vcc_lo, v15, v26
	v_med3_i32 v23, v23, 0, 13
	v_lshl_or_b32 v0, v0, 9, 0x7c00
	v_lshl_or_b32 v4, v4, 9, 0x7c00
	v_or_b32_e32 v21, v24, v21
	v_cndmask_b32_e64 v15, 0, 1, vcc_lo
	v_cmp_gt_i32_e32 vcc_lo, 1, v22
	v_lshrrev_b32_e32 v26, v23, v32
	v_lshl_or_b32 v24, v25, 12, v12
	v_lshrrev_b32_e32 v1, 16, v1
	v_or_b32_e32 v15, v29, v15
	v_cndmask_b32_e32 v21, v31, v21, vcc_lo
	v_cmp_gt_i32_e32 vcc_lo, 1, v16
	v_lshlrev_b32_e32 v23, v23, v26
	v_lshrrev_b32_e32 v5, 16, v5
	v_add_nc_u32_e32 v20, 0xfffffc10, v20
	v_and_b32_e32 v27, 7, v21
	v_cndmask_b32_e32 v15, v28, v15, vcc_lo
	v_cmp_ne_u32_e32 vcc_lo, v23, v32
	v_lshrrev_b32_e32 v21, 2, v21
	v_lshrrev_b32_e32 v28, v18, v30
	v_cmp_eq_u32_e64 s0, 3, v27
	v_and_b32_e32 v29, 7, v15
	v_cndmask_b32_e64 v23, 0, 1, vcc_lo
	v_cmp_lt_i32_e32 vcc_lo, 5, v27
	v_lshrrev_b32_e32 v15, 2, v15
	v_lshlrev_b32_e32 v18, v18, v28
	v_cmp_lt_i32_e64 s1, 5, v29
	v_cmp_eq_u32_e64 s2, 3, v29
	s_or_b32 vcc_lo, s0, vcc_lo
	v_or_b32_e32 v23, v26, v23
	v_add_co_ci_u32_e32 v21, vcc_lo, 0, v21, vcc_lo
	s_or_b32 vcc_lo, s2, s1
	v_cmp_ne_u32_e64 s1, v18, v30
	v_add_co_ci_u32_e32 v15, vcc_lo, 0, v15, vcc_lo
	v_cmp_gt_i32_e32 vcc_lo, 31, v22
	v_lshlrev_b64 v[10:11], 2, v[10:11]
	v_and_or_b32 v6, 0x1ff, v7, v6
	v_lshrrev_b32_e32 v13, 16, v13
	v_lshrrev_b32_e32 v9, 16, v9
	v_cndmask_b32_e32 v21, 0x7c00, v21, vcc_lo
	v_cmp_gt_i32_e32 vcc_lo, 1, v25
	s_mul_hi_u32 s2, s8, 0x110
	v_cndmask_b32_e32 v23, v24, v23, vcc_lo
	v_cmp_gt_i32_e32 vcc_lo, 31, v16
	v_cndmask_b32_e32 v15, 0x7c00, v15, vcc_lo
	v_cmp_eq_u32_e32 vcc_lo, 0x40f, v22
	v_cndmask_b32_e32 v0, v21, v0, vcc_lo
	v_and_b32_e32 v21, 7, v23
	v_cmp_eq_u32_e32 vcc_lo, 0x40f, v16
	v_and_or_b32 v0, 0x8000, v1, v0
	v_cmp_eq_u32_e64 s0, 3, v21
	v_cndmask_b32_e32 v4, v15, v4, vcc_lo
	v_cmp_lt_i32_e32 vcc_lo, 5, v21
	v_lshrrev_b32_e32 v1, 2, v23
	v_and_b32_e32 v0, 0xffff, v0
	v_and_or_b32 v4, 0x8000, v5, v4
	s_or_b32 vcc_lo, s0, vcc_lo
	v_cndmask_b32_e64 v5, 0, 1, s1
	v_add_co_ci_u32_e32 v1, vcc_lo, 0, v1, vcc_lo
	v_cmp_ne_u32_e32 vcc_lo, 0, v12
	v_lshl_or_b32 v15, v4, 16, v0
	v_or_b32_e32 v0, v28, v5
	v_lshl_or_b32 v4, v20, 12, v8
	v_cmp_ne_u32_e64 s1, 0, v6
	v_cndmask_b32_e64 v5, 0, 1, vcc_lo
	v_cmp_gt_i32_e32 vcc_lo, 1, v20
	v_cndmask_b32_e64 v6, 0, 1, s1
	v_lshl_or_b32 v16, v5, 9, 0x7c00
	v_cndmask_b32_e32 v12, v4, v0, vcc_lo
	v_cvt_f32_f16_e32 v0, v2
	v_cmp_gt_i32_e32 vcc_lo, 31, v25
	s_mul_i32 s1, s9, 0x110
	v_and_b32_e32 v18, 7, v12
	s_add_i32 s2, s2, s1
	v_cndmask_b32_e32 v2, 0x7c00, v1, vcc_lo
	v_cvt_f64_f32_e32 v[0:1], v0
	v_add_co_u32 v4, vcc_lo, v14, v10
	v_add_co_ci_u32_e32 v5, vcc_lo, v17, v11, vcc_lo
	v_cmp_eq_u32_e32 vcc_lo, 0x40f, v25
	v_cmp_eq_u32_e64 s0, 3, v18
	v_lshrrev_b32_e32 v10, 2, v12
	v_lshrrev_b32_e32 v11, 8, v7
	v_bfe_u32 v12, v7, 20, 11
	v_cndmask_b32_e32 v2, v2, v16, vcc_lo
	v_cmp_lt_i32_e32 vcc_lo, 5, v18
	v_lshrrev_b32_e32 v16, 16, v3
	v_and_or_b32 v6, 0xffe, v11, v6
	v_sub_nc_u32_e32 v11, 0x3f1, v12
	v_and_or_b32 v2, 0x8000, v13, v2
	s_or_b32 vcc_lo, s0, vcc_lo
	v_mul_f16_sdwa v18, v53, v16 dst_sel:DWORD dst_unused:UNUSED_PAD src0_sel:WORD_1 src1_sel:DWORD
	v_add_co_ci_u32_e32 v10, vcc_lo, 0, v10, vcc_lo
	v_cmp_ne_u32_e32 vcc_lo, 0, v8
	v_or_b32_e32 v14, 0x1000, v6
	v_mul_f64 v[0:1], v[0:1], s[6:7]
	v_med3_i32 v11, v11, 0, 13
	v_fmac_f16_e32 v18, v53, v3
	v_cndmask_b32_e64 v8, 0, 1, vcc_lo
	v_cmp_gt_i32_e32 vcc_lo, 31, v20
	v_add_nc_u32_e32 v12, 0xfffffc10, v12
	v_lshrrev_b32_e32 v17, v11, v14
	global_store_dword v[4:5], v15, off
	v_lshl_or_b32 v8, v8, 9, 0x7c00
	v_cndmask_b32_e32 v10, 0x7c00, v10, vcc_lo
	v_cmp_eq_u32_e32 vcc_lo, 0x40f, v20
	v_and_b32_e32 v2, 0xffff, v2
	v_lshl_or_b32 v13, v12, 12, v6
	v_mul_f16_sdwa v3, v53, v3 dst_sel:DWORD dst_unused:UNUSED_PAD src0_sel:WORD_1 src1_sel:DWORD
	v_cndmask_b32_e32 v8, v10, v8, vcc_lo
	v_lshlrev_b32_e32 v10, v11, v17
	v_and_or_b32 v11, 0x8000, v9, v8
	v_cmp_ne_u32_e32 vcc_lo, v10, v14
	v_and_or_b32 v0, 0x1ff, v1, v0
	v_cvt_f32_f16_e32 v9, v18
	v_lshrrev_b32_e32 v14, 8, v1
	v_bfe_u32 v15, v1, 20, 11
	v_cndmask_b32_e64 v8, 0, 1, vcc_lo
	v_cmp_ne_u32_e32 vcc_lo, 0, v0
	v_lshrrev_b32_e32 v1, 16, v1
	v_or_b32_e32 v10, v17, v8
	v_cndmask_b32_e64 v0, 0, 1, vcc_lo
	v_cmp_gt_i32_e32 vcc_lo, 1, v12
	v_cvt_f64_f32_e32 v[8:9], v9
	v_lshl_or_b32 v17, v11, 16, v2
	v_sub_nc_u32_e32 v2, 0x3f1, v15
	v_and_or_b32 v0, 0xffe, v14, v0
	v_cndmask_b32_e32 v10, v13, v10, vcc_lo
	v_med3_i32 v14, v2, 0, 13
	v_or_b32_e32 v13, 0x1000, v0
	v_and_b32_e32 v11, 7, v10
	v_fma_f16 v2, v53, v16, -v3
	v_lshrrev_b32_e32 v10, 2, v10
	v_cmp_lt_i32_e32 vcc_lo, 5, v11
	v_cmp_eq_u32_e64 s0, 3, v11
	v_lshrrev_b32_e32 v11, v14, v13
	v_cvt_f32_f16_e32 v16, v2
	s_or_b32 vcc_lo, s0, vcc_lo
	v_lshlrev_b32_e32 v14, v14, v11
	v_mul_f64 v[2:3], v[8:9], s[6:7]
	v_cvt_f64_f32_e32 v[8:9], v16
	v_add_co_ci_u32_e32 v16, vcc_lo, 0, v10, vcc_lo
	v_cmp_ne_u32_e32 vcc_lo, v14, v13
	v_add_nc_u32_e32 v13, 0xfffffc10, v15
	v_add_nc_u32_e32 v14, 0x400, v42
	v_cndmask_b32_e64 v10, 0, 1, vcc_lo
	v_cmp_ne_u32_e32 vcc_lo, 0, v6
	v_lshl_or_b32 v18, v13, 12, v0
	v_or_b32_e32 v15, v11, v10
	v_cndmask_b32_e64 v6, 0, 1, vcc_lo
	v_cmp_gt_i32_e32 vcc_lo, 31, v12
	ds_read2_b32 v[10:11], v14 offset0:16 offset1:84
	v_lshl_or_b32 v6, v6, 9, 0x7c00
	v_cndmask_b32_e32 v16, 0x7c00, v16, vcc_lo
	v_cmp_gt_i32_e32 vcc_lo, 1, v13
	v_and_or_b32 v2, 0x1ff, v3, v2
	v_bfe_u32 v19, v3, 20, 11
	v_cndmask_b32_e32 v15, v18, v15, vcc_lo
	v_cmp_eq_u32_e32 vcc_lo, 0x40f, v12
	v_and_b32_e32 v18, 7, v15
	v_cndmask_b32_e32 v12, v16, v6, vcc_lo
	v_lshrrev_b32_e32 v16, 16, v7
	v_mul_f64 v[6:7], v[8:9], s[6:7]
	v_cmp_ne_u32_e32 vcc_lo, 0, v2
	v_cmp_eq_u32_e64 s0, 3, v18
	v_lshrrev_b32_e32 v8, 8, v3
	v_lshrrev_b32_e32 v9, 2, v15
	s_waitcnt lgkmcnt(0)
	v_lshrrev_b32_e32 v15, 16, v10
	v_cndmask_b32_e64 v2, 0, 1, vcc_lo
	v_cmp_lt_i32_e32 vcc_lo, 5, v18
	v_and_or_b32 v12, 0x8000, v16, v12
	v_mul_f16_sdwa v20, v52, v15 dst_sel:DWORD dst_unused:UNUSED_PAD src0_sel:WORD_1 src1_sel:DWORD
	v_and_or_b32 v2, 0xffe, v8, v2
	s_or_b32 vcc_lo, s0, vcc_lo
	v_sub_nc_u32_e32 v8, 0x3f1, v19
	v_add_co_ci_u32_e32 v9, vcc_lo, 0, v9, vcc_lo
	v_cmp_gt_i32_e32 vcc_lo, 31, v13
	v_or_b32_e32 v18, 0x1000, v2
	v_med3_i32 v8, v8, 0, 13
	v_fmac_f16_e32 v20, v52, v10
	v_add_nc_u32_e32 v19, 0xfffffc10, v19
	v_cndmask_b32_e32 v16, 0x7c00, v9, vcc_lo
	v_and_or_b32 v6, 0x1ff, v7, v6
	v_cmp_ne_u32_e32 vcc_lo, 0, v0
	v_lshrrev_b32_e32 v21, v8, v18
	v_bfe_u32 v23, v7, 20, 11
	v_and_b32_e32 v12, 0xffff, v12
	v_cndmask_b32_e64 v0, 0, 1, vcc_lo
	v_cmp_ne_u32_e32 vcc_lo, 0, v6
	v_lshlrev_b32_e32 v22, v8, v21
	v_cvt_f32_f16_e32 v8, v20
	v_lshrrev_b32_e32 v20, 8, v7
	v_lshl_or_b32 v0, v0, 9, 0x7c00
	v_cndmask_b32_e64 v6, 0, 1, vcc_lo
	v_cmp_ne_u32_e32 vcc_lo, v22, v18
	v_cvt_f64_f32_e32 v[8:9], v8
	v_lshrrev_b32_e32 v7, 16, v7
	v_and_or_b32 v6, 0xffe, v20, v6
	v_sub_nc_u32_e32 v20, 0x3f1, v23
	v_cndmask_b32_e64 v18, 0, 1, vcc_lo
	v_cmp_eq_u32_e32 vcc_lo, 0x40f, v13
	v_or_b32_e32 v22, 0x1000, v6
	v_med3_i32 v20, v20, 0, 13
	v_or_b32_e32 v18, v21, v18
	v_lshl_or_b32 v21, v19, 12, v2
	v_cndmask_b32_e32 v0, v16, v0, vcc_lo
	v_cmp_gt_i32_e32 vcc_lo, 1, v19
	v_lshrrev_b32_e32 v16, v20, v22
	v_cndmask_b32_e32 v13, v21, v18, vcc_lo
	v_lshlrev_b32_e32 v20, v20, v16
	v_and_or_b32 v18, 0x8000, v1, v0
	v_add_co_u32 v4, vcc_lo, v4, s3
	v_and_b32_e32 v21, 7, v13
	v_cmp_ne_u32_e64 s0, v20, v22
	v_mul_f64 v[0:1], v[8:9], s[6:7]
	v_mul_f16_sdwa v8, v52, v10 dst_sel:DWORD dst_unused:UNUSED_PAD src0_sel:WORD_1 src1_sel:DWORD
	v_add_co_ci_u32_e32 v5, vcc_lo, s2, v5, vcc_lo
	v_cmp_lt_i32_e32 vcc_lo, 5, v21
	v_cndmask_b32_e64 v9, 0, 1, s0
	v_cmp_eq_u32_e64 s0, 3, v21
	v_lshl_or_b32 v18, v18, 16, v12
	v_lshrrev_b32_e32 v12, 2, v13
	v_fma_f16 v8, v52, v15, -v8
	v_add_nc_u32_e32 v10, 0xfffffc10, v23
	s_or_b32 vcc_lo, s0, vcc_lo
	v_or_b32_e32 v13, v16, v9
	v_add_co_ci_u32_e32 v12, vcc_lo, 0, v12, vcc_lo
	v_cmp_ne_u32_e32 vcc_lo, 0, v2
	v_cvt_f32_f16_e32 v8, v8
	v_lshl_or_b32 v15, v10, 12, v6
	v_lshrrev_b32_e32 v23, 16, v11
	global_store_dword v[4:5], v17, off
	v_cndmask_b32_e64 v2, 0, 1, vcc_lo
	v_cmp_gt_i32_e32 vcc_lo, 1, v10
	v_cvt_f64_f32_e32 v[8:9], v8
	v_and_or_b32 v0, 0x1ff, v1, v0
	v_lshrrev_b32_e32 v16, 8, v1
	v_lshl_or_b32 v2, v2, 9, 0x7c00
	v_cndmask_b32_e32 v13, v15, v13, vcc_lo
	v_cmp_gt_i32_e32 vcc_lo, 31, v19
	v_bfe_u32 v20, v1, 20, 11
	v_and_b32_e32 v15, 7, v13
	v_cndmask_b32_e32 v12, 0x7c00, v12, vcc_lo
	v_cmp_ne_u32_e32 vcc_lo, 0, v0
	v_lshrrev_b32_e32 v13, 2, v13
	v_cmp_eq_u32_e64 s0, 3, v15
	v_cndmask_b32_e64 v0, 0, 1, vcc_lo
	v_cmp_eq_u32_e32 vcc_lo, 0x40f, v19
	v_lshrrev_b32_e32 v19, 16, v3
	v_and_or_b32 v0, 0xffe, v16, v0
	v_cndmask_b32_e32 v12, v12, v2, vcc_lo
	v_sub_nc_u32_e32 v2, 0x3f1, v20
	v_mul_f64 v[8:9], v[8:9], s[6:7]
	v_cmp_lt_i32_e32 vcc_lo, 5, v15
	v_or_b32_e32 v15, 0x1000, v0
	v_and_or_b32 v19, 0x8000, v19, v12
	v_med3_i32 v16, v2, 0, 13
	s_or_b32 vcc_lo, s0, vcc_lo
	v_add_co_ci_u32_e32 v13, vcc_lo, 0, v13, vcc_lo
	v_lshrrev_b32_e32 v21, v16, v15
	v_add_co_u32 v2, vcc_lo, v4, s3
	v_add_co_ci_u32_e32 v3, vcc_lo, s2, v5, vcc_lo
	v_lshlrev_b32_e32 v16, v16, v21
	v_cmp_gt_i32_e32 vcc_lo, 31, v10
	v_and_b32_e32 v19, 0xffff, v19
	global_store_dword v[2:3], v18, off
	v_cndmask_b32_e32 v22, 0x7c00, v13, vcc_lo
	v_cmp_ne_u32_e32 vcc_lo, v16, v15
	v_and_or_b32 v8, 0x1ff, v9, v8
	v_mul_f16_sdwa v13, v51, v23 dst_sel:DWORD dst_unused:UNUSED_PAD src0_sel:WORD_1 src1_sel:DWORD
	v_add_nc_u32_e32 v15, 0xfffffc10, v20
	v_lshrrev_b32_e32 v20, 8, v9
	v_cndmask_b32_e64 v12, 0, 1, vcc_lo
	v_cmp_ne_u32_e32 vcc_lo, 0, v6
	v_fmac_f16_e32 v13, v51, v11
	v_lshl_or_b32 v16, v15, 12, v0
	v_or_b32_e32 v12, v21, v12
	v_cndmask_b32_e64 v6, 0, 1, vcc_lo
	v_cmp_ne_u32_e32 vcc_lo, 0, v8
	v_bfe_u32 v21, v9, 20, 11
	v_cvt_f32_f16_e32 v13, v13
	v_lshrrev_b32_e32 v9, 16, v9
	v_lshl_or_b32 v6, v6, 9, 0x7c00
	v_cndmask_b32_e64 v8, 0, 1, vcc_lo
	v_cmp_gt_i32_e32 vcc_lo, 1, v15
	v_and_or_b32 v8, 0xffe, v20, v8
	v_sub_nc_u32_e32 v20, 0x3f1, v21
	v_cndmask_b32_e32 v16, v16, v12, vcc_lo
	v_cvt_f64_f32_e32 v[12:13], v13
	v_cmp_eq_u32_e32 vcc_lo, 0x40f, v10
	v_or_b32_e32 v25, 0x1000, v8
	v_med3_i32 v20, v20, 0, 13
	v_and_b32_e32 v24, 7, v16
	v_mul_f16_sdwa v10, v51, v11 dst_sel:DWORD dst_unused:UNUSED_PAD src0_sel:WORD_1 src1_sel:DWORD
	v_cndmask_b32_e32 v6, v22, v6, vcc_lo
	v_lshrrev_b32_e32 v22, v20, v25
	v_cmp_lt_i32_e32 vcc_lo, 5, v24
	v_cmp_eq_u32_e64 s0, 3, v24
	v_and_or_b32 v24, 0x8000, v7, v6
	v_lshrrev_b32_e32 v6, 2, v16
	v_fma_f16 v7, v51, v23, -v10
	v_lshlrev_b32_e32 v10, v20, v22
	s_or_b32 vcc_lo, s0, vcc_lo
	v_add_co_ci_u32_e32 v16, vcc_lo, 0, v6, vcc_lo
	v_cmp_ne_u32_e32 vcc_lo, v10, v25
	v_cvt_f32_f16_e32 v11, v7
	v_mul_f64 v[6:7], v[12:13], s[6:7]
	v_add_nc_u32_e32 v12, 0xfffffc10, v21
	v_cndmask_b32_e64 v20, 0, 1, vcc_lo
	v_cmp_ne_u32_e32 vcc_lo, 0, v0
	v_cvt_f64_f32_e32 v[10:11], v11
	v_or_b32_e32 v13, v22, v20
	v_cndmask_b32_e64 v0, 0, 1, vcc_lo
	v_cmp_gt_i32_e32 vcc_lo, 31, v15
	v_lshl_or_b32 v20, v12, 12, v8
	v_lshl_or_b32 v0, v0, 9, 0x7c00
	v_cndmask_b32_e32 v16, 0x7c00, v16, vcc_lo
	v_cmp_gt_i32_e32 vcc_lo, 1, v12
	v_cndmask_b32_e32 v13, v20, v13, vcc_lo
	v_cmp_eq_u32_e32 vcc_lo, 0x40f, v15
	v_and_or_b32 v6, 0x1ff, v7, v6
	v_and_b32_e32 v4, 7, v13
	v_cndmask_b32_e32 v15, v16, v0, vcc_lo
	v_lshrrev_b32_e32 v16, 16, v1
	ds_read2_b32 v[0:1], v14 offset0:152 offset1:220
	v_cmp_ne_u32_e64 s1, 0, v6
	v_cmp_lt_i32_e32 vcc_lo, 5, v4
	v_cmp_eq_u32_e64 s0, 3, v4
	v_mul_f64 v[4:5], v[10:11], s[6:7]
	v_lshrrev_b32_e32 v10, 2, v13
	v_cndmask_b32_e64 v6, 0, 1, s1
	v_lshrrev_b32_e32 v11, 8, v7
	v_bfe_u32 v13, v7, 20, 11
	s_or_b32 vcc_lo, s0, vcc_lo
	v_and_or_b32 v15, 0x8000, v16, v15
	v_add_co_ci_u32_e32 v10, vcc_lo, 0, v10, vcc_lo
	v_and_or_b32 v6, 0xffe, v11, v6
	v_sub_nc_u32_e32 v11, 0x3f1, v13
	v_cmp_ne_u32_e32 vcc_lo, 0, v8
	v_lshl_or_b32 v14, v24, 16, v19
	v_lshrrev_b32_e32 v7, 16, v7
	v_or_b32_e32 v17, 0x1000, v6
	v_med3_i32 v11, v11, 0, 13
	s_waitcnt lgkmcnt(0)
	v_lshrrev_b32_e32 v16, 16, v0
	v_cndmask_b32_e64 v8, 0, 1, vcc_lo
	v_cmp_gt_i32_e32 vcc_lo, 31, v12
	v_lshrrev_b32_e32 v19, v11, v17
	v_mul_f16_sdwa v18, v50, v16 dst_sel:DWORD dst_unused:UNUSED_PAD src0_sel:WORD_1 src1_sel:DWORD
	v_lshl_or_b32 v8, v8, 9, 0x7c00
	v_cndmask_b32_e32 v10, 0x7c00, v10, vcc_lo
	v_and_or_b32 v4, 0x1ff, v5, v4
	v_cmp_eq_u32_e32 vcc_lo, 0x40f, v12
	v_fmac_f16_e32 v18, v50, v0
	v_lshlrev_b32_e32 v12, v11, v19
	v_bfe_u32 v20, v5, 20, 11
	v_mul_f16_sdwa v0, v50, v0 dst_sel:DWORD dst_unused:UNUSED_PAD src0_sel:WORD_1 src1_sel:DWORD
	v_cndmask_b32_e32 v8, v10, v8, vcc_lo
	v_cmp_ne_u32_e32 vcc_lo, 0, v4
	v_cvt_f32_f16_e32 v10, v18
	v_lshrrev_b32_e32 v18, 8, v5
	v_fma_f16 v0, v50, v16, -v0
	v_and_or_b32 v8, 0x8000, v9, v8
	v_cndmask_b32_e64 v4, 0, 1, vcc_lo
	v_cmp_ne_u32_e32 vcc_lo, v12, v17
	v_cvt_f64_f32_e32 v[10:11], v10
	v_add_nc_u32_e32 v17, 0xfffffc10, v13
	v_sub_nc_u32_e32 v13, 0x3f1, v20
	v_and_or_b32 v4, 0xffe, v18, v4
	v_cndmask_b32_e64 v12, 0, 1, vcc_lo
	v_and_b32_e32 v9, 0xffff, v15
	v_lshl_or_b32 v18, v17, 12, v6
	v_med3_i32 v13, v13, 0, 13
	v_cmp_gt_i32_e32 vcc_lo, 1, v17
	v_or_b32_e32 v12, v19, v12
	v_or_b32_e32 v19, 0x1000, v4
	v_cvt_f32_f16_e32 v0, v0
	v_add_nc_u32_e32 v16, 0xfffffc10, v20
	v_cndmask_b32_e32 v12, v18, v12, vcc_lo
	v_lshrrev_b32_e32 v15, v13, v19
	v_add_co_u32 v2, vcc_lo, v2, s3
	v_add_co_ci_u32_e32 v3, vcc_lo, s2, v3, vcc_lo
	v_lshlrev_b32_e32 v13, v13, v15
	v_and_b32_e32 v21, 7, v12
	v_lshl_or_b32 v18, v8, 16, v9
	v_mul_f64 v[8:9], v[10:11], s[6:7]
	v_add_co_u32 v10, vcc_lo, v2, s3
	v_cmp_ne_u32_e64 s0, v13, v19
	v_add_co_ci_u32_e32 v11, vcc_lo, s2, v3, vcc_lo
	v_cmp_lt_i32_e32 vcc_lo, 5, v21
	v_lshrrev_b32_e32 v19, 2, v12
	v_cndmask_b32_e64 v13, 0, 1, s0
	v_cmp_eq_u32_e64 s0, 3, v21
	v_lshl_or_b32 v20, v16, 12, v4
	global_store_dword v[2:3], v14, off
	global_store_dword v[10:11], v18, off
	v_or_b32_e32 v15, v15, v13
	s_or_b32 vcc_lo, s0, vcc_lo
	v_cvt_f64_f32_e32 v[12:13], v0
	v_add_co_ci_u32_e32 v0, vcc_lo, 0, v19, vcc_lo
	v_cmp_ne_u32_e32 vcc_lo, 0, v6
	v_and_or_b32 v8, 0x1ff, v9, v8
	v_cndmask_b32_e64 v6, 0, 1, vcc_lo
	v_cmp_gt_i32_e32 vcc_lo, 1, v16
	v_bfe_u32 v21, v9, 20, 11
	v_lshl_or_b32 v6, v6, 9, 0x7c00
	v_cndmask_b32_e32 v15, v20, v15, vcc_lo
	v_cmp_gt_i32_e32 vcc_lo, 31, v17
	v_lshrrev_b32_e32 v20, 8, v9
	v_and_b32_e32 v19, 7, v15
	v_cndmask_b32_e32 v0, 0x7c00, v0, vcc_lo
	v_cmp_ne_u32_e32 vcc_lo, 0, v8
	v_mul_f64 v[12:13], v[12:13], s[6:7]
	v_lshrrev_b32_e32 v15, 2, v15
	v_cmp_eq_u32_e64 s0, 3, v19
	v_cndmask_b32_e64 v8, 0, 1, vcc_lo
	v_cmp_eq_u32_e32 vcc_lo, 0x40f, v17
	v_cndmask_b32_e32 v0, v0, v6, vcc_lo
	v_cmp_lt_i32_e32 vcc_lo, 5, v19
	v_and_or_b32 v6, 0xffe, v20, v8
	v_sub_nc_u32_e32 v8, 0x3f1, v21
	v_lshrrev_b32_e32 v19, 16, v1
	v_and_or_b32 v0, 0x8000, v7, v0
	s_or_b32 vcc_lo, s0, vcc_lo
	v_or_b32_e32 v17, 0x1000, v6
	v_add_co_ci_u32_e32 v15, vcc_lo, 0, v15, vcc_lo
	v_med3_i32 v8, v8, 0, 13
	v_cmp_ne_u32_e32 vcc_lo, 0, v4
	v_mul_f16_sdwa v22, v49, v19 dst_sel:DWORD dst_unused:UNUSED_PAD src0_sel:WORD_1 src1_sel:DWORD
	v_and_b32_e32 v0, 0xffff, v0
	v_lshrrev_b32_e32 v20, v8, v17
	v_cndmask_b32_e64 v4, 0, 1, vcc_lo
	v_cmp_gt_i32_e32 vcc_lo, 31, v16
	v_fmac_f16_e32 v22, v49, v1
	v_lshlrev_b32_e32 v7, v8, v20
	v_lshl_or_b32 v4, v4, 9, 0x7c00
	v_cndmask_b32_e32 v15, 0x7c00, v15, vcc_lo
	v_cmp_eq_u32_e32 vcc_lo, 0x40f, v16
	v_cndmask_b32_e32 v8, v15, v4, vcc_lo
	v_and_or_b32 v4, 0x1ff, v13, v12
	v_cmp_ne_u32_e32 vcc_lo, v7, v17
	v_lshrrev_b32_e32 v15, 16, v5
	v_cvt_f32_f16_e32 v5, v22
	v_add_nc_u32_e32 v12, 0xfffffc10, v21
	v_lshrrev_b32_e32 v17, 8, v13
	v_cndmask_b32_e64 v7, 0, 1, vcc_lo
	v_cmp_ne_u32_e32 vcc_lo, 0, v4
	v_bfe_u32 v21, v13, 20, 11
	v_cvt_f64_f32_e32 v[4:5], v5
	v_and_or_b32 v8, 0x8000, v15, v8
	v_or_b32_e32 v7, v20, v7
	v_cndmask_b32_e64 v16, 0, 1, vcc_lo
	v_lshl_or_b32 v15, v12, 12, v6
	v_cmp_gt_i32_e32 vcc_lo, 1, v12
	v_lshl_or_b32 v14, v8, 16, v0
	v_lshrrev_b32_e32 v22, 16, v9
	v_and_or_b32 v16, 0xffe, v17, v16
	v_sub_nc_u32_e32 v17, 0x3f1, v21
	v_cndmask_b32_e32 v7, v15, v7, vcc_lo
	v_add_co_u32 v2, vcc_lo, v10, s3
	v_or_b32_e32 v15, 0x1000, v16
	v_med3_i32 v17, v17, 0, 13
	v_and_b32_e32 v0, 7, v7
	v_add_co_ci_u32_e32 v3, vcc_lo, s2, v11, vcc_lo
	v_lshrrev_b32_e32 v13, 16, v13
	v_lshrrev_b32_e32 v8, v17, v15
	v_cmp_lt_i32_e32 vcc_lo, 5, v0
	v_cmp_eq_u32_e64 s0, 3, v0
	v_mul_f64 v[4:5], v[4:5], s[6:7]
	v_mul_f16_sdwa v0, v49, v1 dst_sel:DWORD dst_unused:UNUSED_PAD src0_sel:WORD_1 src1_sel:DWORD
	v_lshlrev_b32_e32 v10, v17, v8
	v_lshrrev_b32_e32 v1, 2, v7
	s_or_b32 vcc_lo, s0, vcc_lo
	global_store_dword v[2:3], v14, off
	v_fma_f16 v0, v49, v19, -v0
	v_cmp_ne_u32_e64 s1, v10, v15
	v_add_co_ci_u32_e32 v11, vcc_lo, 0, v1, vcc_lo
	v_add_nc_u32_e32 v10, 0xfffffc10, v21
	v_cmp_ne_u32_e32 vcc_lo, 0, v6
	v_cndmask_b32_e64 v7, 0, 1, s1
	v_add_nc_u32_e32 v15, 0x800, v42
	v_lshl_or_b32 v17, v10, 12, v16
	v_cndmask_b32_e64 v18, 0, 1, vcc_lo
	v_or_b32_e32 v8, v8, v7
	v_cvt_f32_f16_e32 v7, v0
	v_cmp_gt_i32_e32 vcc_lo, 1, v10
	ds_read2_b32 v[0:1], v15 offset0:32 offset1:100
	v_and_or_b32 v4, 0x1ff, v5, v4
	v_cvt_f64_f32_e32 v[6:7], v7
	v_cndmask_b32_e32 v8, v17, v8, vcc_lo
	v_cmp_gt_i32_e32 vcc_lo, 31, v12
	v_lshl_or_b32 v17, v18, 9, 0x7c00
	v_lshrrev_b32_e32 v19, 8, v5
	v_bfe_u32 v20, v5, 20, 11
	v_and_b32_e32 v18, 7, v8
	v_cndmask_b32_e32 v11, 0x7c00, v11, vcc_lo
	v_cmp_ne_u32_e32 vcc_lo, 0, v4
	v_lshrrev_b32_e32 v8, 2, v8
	v_cmp_eq_u32_e64 s0, 3, v18
	v_cndmask_b32_e64 v4, 0, 1, vcc_lo
	v_cmp_eq_u32_e32 vcc_lo, 0x40f, v12
	v_sub_nc_u32_e32 v12, 0x3f1, v20
	v_and_or_b32 v4, 0xffe, v19, v4
	v_cndmask_b32_e32 v11, v11, v17, vcc_lo
	v_cmp_lt_i32_e32 vcc_lo, 5, v18
	v_med3_i32 v12, v12, 0, 13
	v_mul_f64 v[6:7], v[6:7], s[6:7]
	v_or_b32_e32 v18, 0x1000, v4
	s_waitcnt lgkmcnt(0)
	v_lshrrev_b32_e32 v17, 16, v0
	s_or_b32 vcc_lo, s0, vcc_lo
	v_and_or_b32 v11, 0x8000, v22, v11
	v_add_co_ci_u32_e32 v8, vcc_lo, 0, v8, vcc_lo
	v_cmp_ne_u32_e32 vcc_lo, 0, v16
	v_lshrrev_b32_e32 v21, v12, v18
	v_mul_f16_sdwa v19, v48, v17 dst_sel:DWORD dst_unused:UNUSED_PAD src0_sel:WORD_1 src1_sel:DWORD
	v_and_b32_e32 v11, 0xffff, v11
	v_cndmask_b32_e64 v16, 0, 1, vcc_lo
	v_cmp_gt_i32_e32 vcc_lo, 31, v10
	v_lshlrev_b32_e32 v12, v12, v21
	v_fmac_f16_e32 v19, v48, v0
	v_mul_f16_sdwa v0, v48, v0 dst_sel:DWORD dst_unused:UNUSED_PAD src0_sel:WORD_1 src1_sel:DWORD
	v_lshl_or_b32 v16, v16, 9, 0x7c00
	v_cndmask_b32_e32 v8, 0x7c00, v8, vcc_lo
	v_cmp_eq_u32_e32 vcc_lo, 0x40f, v10
	v_cvt_f32_f16_e32 v9, v19
	v_fma_f16 v0, v48, v17, -v0
	v_and_or_b32 v6, 0x1ff, v7, v6
	v_bfe_u32 v19, v7, 20, 11
	v_cndmask_b32_e32 v10, v8, v16, vcc_lo
	v_cmp_ne_u32_e32 vcc_lo, v12, v18
	v_add_nc_u32_e32 v16, 0xfffffc10, v20
	v_cvt_f64_f32_e32 v[8:9], v9
	v_lshrrev_b32_e32 v18, 8, v7
	v_and_or_b32 v10, 0x8000, v13, v10
	v_cndmask_b32_e64 v12, 0, 1, vcc_lo
	v_cmp_ne_u32_e32 vcc_lo, 0, v6
	v_lshl_or_b32 v13, v16, 12, v4
	v_cvt_f32_f16_e32 v0, v0
	v_lshl_or_b32 v10, v10, 16, v11
	v_or_b32_e32 v12, v21, v12
	v_cndmask_b32_e64 v6, 0, 1, vcc_lo
	v_cmp_gt_i32_e32 vcc_lo, 1, v16
	v_lshrrev_b32_e32 v7, 16, v7
	v_and_or_b32 v6, 0xffe, v18, v6
	v_cndmask_b32_e32 v12, v13, v12, vcc_lo
	v_sub_nc_u32_e32 v13, 0x3f1, v19
	v_add_co_u32 v2, vcc_lo, v2, s3
	v_or_b32_e32 v14, 0x1000, v6
	v_and_b32_e32 v11, 7, v12
	v_med3_i32 v13, v13, 0, 13
	v_add_co_ci_u32_e32 v3, vcc_lo, s2, v3, vcc_lo
	v_mul_f64 v[8:9], v[8:9], s[6:7]
	v_cmp_lt_i32_e32 vcc_lo, 5, v11
	v_lshrrev_b32_e32 v18, v13, v14
	v_cmp_eq_u32_e64 s0, 3, v11
	global_store_dword v[2:3], v10, off
	v_lshrrev_b32_e32 v10, 2, v12
	v_lshlrev_b32_e32 v11, v13, v18
	s_or_b32 vcc_lo, s0, vcc_lo
	v_add_nc_u32_e32 v13, 0xfffffc10, v19
	v_add_co_ci_u32_e32 v12, vcc_lo, 0, v10, vcc_lo
	v_cmp_ne_u32_e32 vcc_lo, v11, v14
	v_lshl_or_b32 v17, v13, 12, v6
	v_cndmask_b32_e64 v10, 0, 1, vcc_lo
	v_cmp_ne_u32_e32 vcc_lo, 0, v4
	v_or_b32_e32 v14, v18, v10
	v_cndmask_b32_e64 v4, 0, 1, vcc_lo
	v_cmp_gt_i32_e32 vcc_lo, 31, v16
	v_and_or_b32 v8, 0x1ff, v9, v8
	v_cvt_f64_f32_e32 v[10:11], v0
	v_lshrrev_b32_e32 v18, 16, v5
	v_lshl_or_b32 v4, v4, 9, 0x7c00
	v_cndmask_b32_e32 v0, 0x7c00, v12, vcc_lo
	v_cmp_gt_i32_e32 vcc_lo, 1, v13
	v_cndmask_b32_e32 v12, v17, v14, vcc_lo
	v_cmp_ne_u32_e32 vcc_lo, 0, v8
	v_lshrrev_b32_e32 v14, 8, v9
	v_bfe_u32 v17, v9, 20, 11
	v_lshrrev_b32_e32 v9, 16, v9
	v_cndmask_b32_e64 v8, 0, 1, vcc_lo
	v_cmp_eq_u32_e32 vcc_lo, 0x40f, v16
	v_sub_nc_u32_e32 v16, 0x3f1, v17
	v_add_nc_u32_e32 v17, 0xfffffc10, v17
	v_and_or_b32 v8, 0xffe, v14, v8
	v_cndmask_b32_e32 v0, v0, v4, vcc_lo
	v_and_b32_e32 v4, 7, v12
	v_lshrrev_b32_e32 v14, 16, v1
	v_lshrrev_b32_e32 v12, 2, v12
	v_or_b32_e32 v19, 0x1000, v8
	v_med3_i32 v16, v16, 0, 13
	v_cmp_lt_i32_e32 vcc_lo, 5, v4
	v_cmp_eq_u32_e64 s0, 3, v4
	v_mul_f16_sdwa v20, v47, v14 dst_sel:DWORD dst_unused:UNUSED_PAD src0_sel:WORD_1 src1_sel:DWORD
	v_mul_f64 v[4:5], v[10:11], s[6:7]
	v_lshrrev_b32_e32 v21, v16, v19
	v_and_or_b32 v0, 0x8000, v18, v0
	s_or_b32 vcc_lo, s0, vcc_lo
	v_fmac_f16_e32 v20, v47, v1
	v_add_co_ci_u32_e32 v10, vcc_lo, 0, v12, vcc_lo
	v_cmp_ne_u32_e32 vcc_lo, 0, v6
	v_lshlrev_b32_e32 v12, v16, v21
	v_cvt_f32_f16_e32 v11, v20
	v_and_b32_e32 v0, 0xffff, v0
	v_cndmask_b32_e64 v6, 0, 1, vcc_lo
	v_cmp_gt_i32_e32 vcc_lo, 31, v13
	v_lshl_or_b32 v6, v6, 9, 0x7c00
	v_cndmask_b32_e32 v16, 0x7c00, v10, vcc_lo
	v_cmp_ne_u32_e32 vcc_lo, v12, v19
	v_cvt_f64_f32_e32 v[10:11], v11
	v_and_or_b32 v4, 0x1ff, v5, v4
	v_cndmask_b32_e64 v12, 0, 1, vcc_lo
	v_cmp_eq_u32_e32 vcc_lo, 0x40f, v13
	v_lshl_or_b32 v13, v17, 12, v8
	v_or_b32_e32 v12, v21, v12
	v_cndmask_b32_e32 v6, v16, v6, vcc_lo
	v_cmp_gt_i32_e32 vcc_lo, 1, v17
	v_bfe_u32 v16, v5, 20, 11
	v_lshrrev_b32_e32 v21, 16, v5
	v_and_or_b32 v6, 0x8000, v7, v6
	v_cndmask_b32_e32 v12, v13, v12, vcc_lo
	v_cmp_ne_u32_e32 vcc_lo, 0, v4
	v_lshrrev_b32_e32 v13, 8, v5
	v_lshl_or_b32 v19, v6, 16, v0
	v_and_b32_e32 v18, 7, v12
	v_cndmask_b32_e64 v4, 0, 1, vcc_lo
	v_mul_f64 v[6:7], v[10:11], s[6:7]
	v_sub_nc_u32_e32 v0, 0x3f1, v16
	v_lshrrev_b32_e32 v10, 2, v12
	v_cmp_lt_i32_e32 vcc_lo, 5, v18
	v_and_or_b32 v4, 0xffe, v13, v4
	v_cmp_eq_u32_e64 s0, 3, v18
	v_med3_i32 v12, v0, 0, 13
	v_mul_f16_sdwa v0, v47, v1 dst_sel:DWORD dst_unused:UNUSED_PAD src0_sel:WORD_1 src1_sel:DWORD
	v_add_nc_u32_e32 v16, 0xfffffc10, v16
	v_or_b32_e32 v11, 0x1000, v4
	s_or_b32 vcc_lo, s0, vcc_lo
	v_add_co_ci_u32_e32 v10, vcc_lo, 0, v10, vcc_lo
	v_lshrrev_b32_e32 v13, v12, v11
	v_fma_f16 v14, v47, v14, -v0
	v_add_co_u32 v0, vcc_lo, v2, s3
	v_add_co_ci_u32_e32 v1, vcc_lo, s2, v3, vcc_lo
	v_lshlrev_b32_e32 v12, v12, v13
	v_cmp_gt_i32_e32 vcc_lo, 31, v17
	v_cvt_f32_f16_e32 v2, v14
	v_and_or_b32 v6, 0x1ff, v7, v6
	v_lshrrev_b32_e32 v18, 8, v7
	global_store_dword v[0:1], v19, off
	v_cndmask_b32_e32 v14, 0x7c00, v10, vcc_lo
	v_cmp_ne_u32_e32 vcc_lo, v12, v11
	v_cvt_f64_f32_e32 v[2:3], v2
	ds_read2_b32 v[10:11], v15 offset0:168 offset1:236
	v_bfe_u32 v15, v7, 20, 11
	v_lshrrev_b32_e32 v7, 16, v7
	v_cndmask_b32_e64 v12, 0, 1, vcc_lo
	v_cmp_ne_u32_e32 vcc_lo, 0, v6
	v_or_b32_e32 v12, v13, v12
	v_cndmask_b32_e64 v6, 0, 1, vcc_lo
	v_cmp_ne_u32_e32 vcc_lo, 0, v8
	v_lshl_or_b32 v13, v16, 12, v4
	v_and_or_b32 v6, 0xffe, v18, v6
	v_cndmask_b32_e64 v8, 0, 1, vcc_lo
	v_sub_nc_u32_e32 v18, 0x3f1, v15
	v_cmp_gt_i32_e32 vcc_lo, 1, v16
	v_lshl_or_b32 v8, v8, 9, 0x7c00
	v_med3_i32 v18, v18, 0, 13
	v_cndmask_b32_e32 v12, v13, v12, vcc_lo
	v_or_b32_e32 v13, 0x1000, v6
	v_cmp_eq_u32_e32 vcc_lo, 0x40f, v17
	v_mul_f64 v[2:3], v[2:3], s[6:7]
	s_waitcnt lgkmcnt(0)
	v_lshrrev_b32_e32 v19, 16, v10
	v_and_b32_e32 v17, 7, v12
	v_lshrrev_b32_e32 v12, 2, v12
	v_cndmask_b32_e32 v8, v14, v8, vcc_lo
	v_lshrrev_b32_e32 v14, v18, v13
	v_cmp_lt_i32_e32 vcc_lo, 5, v17
	v_cmp_eq_u32_e64 s0, 3, v17
	v_and_or_b32 v20, 0x8000, v9, v8
	v_lshlrev_b32_e32 v8, v18, v14
	v_mul_f16_sdwa v9, v46, v19 dst_sel:DWORD dst_unused:UNUSED_PAD src0_sel:WORD_1 src1_sel:DWORD
	s_or_b32 vcc_lo, s0, vcc_lo
	v_cmp_ne_u32_e64 s1, v8, v13
	v_add_co_ci_u32_e32 v12, vcc_lo, 0, v12, vcc_lo
	v_add_nc_u32_e32 v13, 0xfffffc10, v15
	v_cmp_ne_u32_e32 vcc_lo, 0, v4
	v_cndmask_b32_e64 v8, 0, 1, s1
	v_fmac_f16_e32 v9, v46, v10
	v_and_or_b32 v2, 0x1ff, v3, v2
	v_lshl_or_b32 v15, v13, 12, v6
	v_cndmask_b32_e64 v4, 0, 1, vcc_lo
	v_or_b32_e32 v14, v14, v8
	v_cmp_gt_i32_e32 vcc_lo, 1, v13
	v_cvt_f32_f16_e32 v8, v9
	v_bfe_u32 v17, v3, 20, 11
	v_lshl_or_b32 v4, v4, 9, 0x7c00
	v_mul_f16_sdwa v10, v46, v10 dst_sel:DWORD dst_unused:UNUSED_PAD src0_sel:WORD_1 src1_sel:DWORD
	v_cndmask_b32_e32 v14, v15, v14, vcc_lo
	v_cmp_ne_u32_e32 vcc_lo, 0, v2
	v_cvt_f64_f32_e32 v[8:9], v8
	v_lshrrev_b32_e32 v15, 8, v3
	v_lshrrev_b32_e32 v3, 16, v3
	v_and_b32_e32 v18, 7, v14
	v_cndmask_b32_e64 v2, 0, 1, vcc_lo
	v_cmp_gt_i32_e32 vcc_lo, 31, v16
	v_cmp_eq_u32_e64 s0, 3, v18
	v_and_or_b32 v2, 0xffe, v15, v2
	v_sub_nc_u32_e32 v15, 0x3f1, v17
	v_cndmask_b32_e32 v12, 0x7c00, v12, vcc_lo
	v_cmp_eq_u32_e32 vcc_lo, 0x40f, v16
	v_or_b32_e32 v16, 0x1000, v2
	v_med3_i32 v15, v15, 0, 13
	v_cndmask_b32_e32 v12, v12, v4, vcc_lo
	v_cmp_lt_i32_e32 vcc_lo, 5, v18
	v_lshrrev_b32_e32 v18, v15, v16
	v_mul_f64 v[4:5], v[8:9], s[6:7]
	v_lshrrev_b32_e32 v8, 2, v14
	v_fma_f16 v9, v46, v19, -v10
	v_lshlrev_b32_e32 v10, v15, v18
	s_or_b32 vcc_lo, s0, vcc_lo
	v_add_nc_u32_e32 v15, 0xfffffc10, v17
	v_add_co_ci_u32_e32 v14, vcc_lo, 0, v8, vcc_lo
	v_cmp_ne_u32_e32 vcc_lo, v10, v16
	v_cvt_f32_f16_e32 v8, v9
	v_lshl_or_b32 v16, v15, 12, v2
	v_and_or_b32 v12, 0x8000, v21, v12
	v_cndmask_b32_e64 v10, 0, 1, vcc_lo
	v_cmp_ne_u32_e32 vcc_lo, 0, v6
	v_cvt_f64_f32_e32 v[8:9], v8
	v_or_b32_e32 v10, v18, v10
	v_cndmask_b32_e64 v6, 0, 1, vcc_lo
	v_cmp_gt_i32_e32 vcc_lo, 31, v13
	v_lshrrev_b32_e32 v18, 16, v11
	v_and_or_b32 v4, 0x1ff, v5, v4
	v_bfe_u32 v17, v5, 20, 11
	v_lshl_or_b32 v6, v6, 9, 0x7c00
	v_cndmask_b32_e32 v14, 0x7c00, v14, vcc_lo
	v_cmp_gt_i32_e32 vcc_lo, 1, v15
	v_cndmask_b32_e32 v10, v16, v10, vcc_lo
	v_cmp_eq_u32_e32 vcc_lo, 0x40f, v13
	v_and_b32_e32 v16, 0xffff, v20
	v_and_b32_e32 v13, 7, v10
	v_cndmask_b32_e32 v6, v14, v6, vcc_lo
	v_cmp_ne_u32_e32 vcc_lo, 0, v4
	v_lshrrev_b32_e32 v10, 2, v10
	v_lshrrev_b32_e32 v14, 8, v5
	v_cmp_eq_u32_e64 s0, 3, v13
	v_mul_f64 v[8:9], v[8:9], s[6:7]
	v_cndmask_b32_e64 v4, 0, 1, vcc_lo
	v_cmp_lt_i32_e32 vcc_lo, 5, v13
	v_sub_nc_u32_e32 v13, 0x3f1, v17
	v_and_or_b32 v6, 0x8000, v7, v6
	v_and_or_b32 v4, 0xffe, v14, v4
	s_or_b32 vcc_lo, s0, vcc_lo
	v_med3_i32 v13, v13, 0, 13
	v_add_co_ci_u32_e32 v10, vcc_lo, 0, v10, vcc_lo
	v_cmp_ne_u32_e32 vcc_lo, 0, v2
	v_or_b32_e32 v14, 0x1000, v4
	v_and_b32_e32 v6, 0xffff, v6
	v_cndmask_b32_e64 v2, 0, 1, vcc_lo
	v_cmp_gt_i32_e32 vcc_lo, 31, v15
	v_lshrrev_b32_e32 v19, v13, v14
	v_lshl_or_b32 v2, v2, 9, 0x7c00
	v_cndmask_b32_e32 v10, 0x7c00, v10, vcc_lo
	v_cmp_eq_u32_e32 vcc_lo, 0x40f, v15
	v_lshl_or_b32 v15, v12, 16, v16
	v_lshlrev_b32_e32 v12, v13, v19
	v_bfe_u32 v13, v9, 20, 11
	v_cndmask_b32_e32 v2, v10, v2, vcc_lo
	v_mul_f16_sdwa v10, v45, v18 dst_sel:DWORD dst_unused:UNUSED_PAD src0_sel:WORD_1 src1_sel:DWORD
	v_cmp_ne_u32_e32 vcc_lo, v12, v14
	v_lshrrev_b32_e32 v12, 8, v9
	v_add_nc_u32_e32 v14, 0xfffffc10, v17
	v_and_or_b32 v7, 0x8000, v3, v2
	v_fmac_f16_e32 v10, v45, v11
	v_and_or_b32 v2, 0x1ff, v9, v8
	v_cndmask_b32_e64 v8, 0, 1, vcc_lo
	v_lshl_or_b32 v16, v14, 12, v4
	v_mul_f16_sdwa v11, v45, v11 dst_sel:DWORD dst_unused:UNUSED_PAD src0_sel:WORD_1 src1_sel:DWORD
	v_cvt_f32_f16_e32 v3, v10
	v_cmp_ne_u32_e32 vcc_lo, 0, v2
	v_or_b32_e32 v8, v19, v8
	v_fma_f16 v11, v45, v18, -v11
	v_cvt_f64_f32_e32 v[2:3], v3
	v_cndmask_b32_e64 v10, 0, 1, vcc_lo
	v_cmp_gt_i32_e32 vcc_lo, 1, v14
	v_add_nc_u32_e32 v18, 0xfffffc10, v13
	v_cvt_f32_f16_e32 v11, v11
	v_and_or_b32 v17, 0xffe, v12, v10
	v_sub_nc_u32_e32 v10, 0x3f1, v13
	v_cndmask_b32_e32 v8, v16, v8, vcc_lo
	v_add_co_u32 v0, vcc_lo, v0, s3
	v_or_b32_e32 v12, 0x1000, v17
	v_med3_i32 v10, v10, 0, 13
	v_add_co_ci_u32_e32 v1, vcc_lo, s2, v1, vcc_lo
	v_and_b32_e32 v19, 7, v8
	v_lshl_or_b32 v16, v7, 16, v6
	v_lshrrev_b32_e32 v20, v10, v12
	v_add_co_u32 v6, vcc_lo, v0, s3
	v_add_co_ci_u32_e32 v7, vcc_lo, s2, v1, vcc_lo
	v_mul_f64 v[2:3], v[2:3], s[6:7]
	v_lshlrev_b32_e32 v10, v10, v20
	v_cmp_lt_i32_e32 vcc_lo, 5, v19
	v_cmp_eq_u32_e64 s0, 3, v19
	v_lshrrev_b32_e32 v8, 2, v8
	v_lshl_or_b32 v21, v18, 12, v17
	v_cmp_ne_u32_e64 s1, v10, v12
	v_add_nc_u32_e32 v19, 0xc00, v42
	s_or_b32 vcc_lo, s0, vcc_lo
	v_add_co_ci_u32_e32 v8, vcc_lo, 0, v8, vcc_lo
	v_cndmask_b32_e64 v10, 0, 1, s1
	v_cmp_ne_u32_e32 vcc_lo, 0, v4
	ds_read2_b32 v[12:13], v19 offset0:48 offset1:116
	global_store_dword v[0:1], v15, off
	global_store_dword v[6:7], v16, off
	v_or_b32_e32 v20, v20, v10
	v_cvt_f64_f32_e32 v[10:11], v11
	v_cndmask_b32_e64 v4, 0, 1, vcc_lo
	v_cmp_gt_i32_e32 vcc_lo, 1, v18
	v_and_or_b32 v2, 0x1ff, v3, v2
	v_lshrrev_b32_e32 v22, 8, v3
	v_lshl_or_b32 v4, v4, 9, 0x7c00
	v_cndmask_b32_e32 v20, v21, v20, vcc_lo
	v_cmp_gt_i32_e32 vcc_lo, 31, v14
	v_bfe_u32 v23, v3, 20, 11
	v_and_b32_e32 v21, 7, v20
	v_cndmask_b32_e32 v8, 0x7c00, v8, vcc_lo
	v_cmp_ne_u32_e32 vcc_lo, 0, v2
	v_cmp_eq_u32_e64 s0, 3, v21
	v_cndmask_b32_e64 v2, 0, 1, vcc_lo
	v_cmp_eq_u32_e32 vcc_lo, 0x40f, v14
	v_lshrrev_b32_e32 v14, 16, v5
	v_and_or_b32 v2, 0xffe, v22, v2
	v_cndmask_b32_e32 v8, v8, v4, vcc_lo
	v_cmp_lt_i32_e32 vcc_lo, 5, v21
	v_mul_f64 v[4:5], v[10:11], s[6:7]
	v_lshrrev_b32_e32 v11, 2, v20
	v_sub_nc_u32_e32 v22, 0x3f1, v23
	v_or_b32_e32 v20, 0x1000, v2
	s_or_b32 vcc_lo, s0, vcc_lo
	s_waitcnt lgkmcnt(0)
	v_lshrrev_b32_e32 v10, 16, v12
	v_add_co_ci_u32_e32 v11, vcc_lo, 0, v11, vcc_lo
	v_med3_i32 v21, v22, 0, 13
	v_cmp_ne_u32_e32 vcc_lo, 0, v17
	v_mul_f16_sdwa v22, v44, v10 dst_sel:DWORD dst_unused:UNUSED_PAD src0_sel:WORD_1 src1_sel:DWORD
	v_and_or_b32 v14, 0x8000, v14, v8
	v_lshrrev_b32_e32 v24, v21, v20
	v_cndmask_b32_e64 v17, 0, 1, vcc_lo
	v_cmp_gt_i32_e32 vcc_lo, 31, v18
	v_fmac_f16_e32 v22, v44, v12
	v_and_b32_e32 v14, 0xffff, v14
	v_lshlrev_b32_e32 v21, v21, v24
	v_lshl_or_b32 v17, v17, 9, 0x7c00
	v_cndmask_b32_e32 v11, 0x7c00, v11, vcc_lo
	v_cmp_eq_u32_e32 vcc_lo, 0x40f, v18
	v_and_or_b32 v4, 0x1ff, v5, v4
	v_cvt_f32_f16_e32 v8, v22
	v_bfe_u32 v22, v5, 20, 11
	v_cndmask_b32_e32 v11, v11, v17, vcc_lo
	v_cmp_ne_u32_e32 vcc_lo, v21, v20
	v_lshrrev_b32_e32 v17, 16, v9
	v_cvt_f64_f32_e32 v[8:9], v8
	v_add_nc_u32_e32 v20, 0xfffffc10, v23
	v_lshrrev_b32_e32 v21, 8, v5
	v_cndmask_b32_e64 v18, 0, 1, vcc_lo
	v_cmp_ne_u32_e32 vcc_lo, 0, v4
	v_and_or_b32 v11, 0x8000, v17, v11
	v_lshrrev_b32_e32 v5, 16, v5
	v_or_b32_e32 v17, v24, v18
	v_cndmask_b32_e64 v4, 0, 1, vcc_lo
	v_lshl_or_b32 v18, v20, 12, v2
	v_cmp_gt_i32_e32 vcc_lo, 1, v20
	v_lshl_or_b32 v11, v11, 16, v14
	v_and_or_b32 v4, 0xffe, v21, v4
	v_sub_nc_u32_e32 v21, 0x3f1, v22
	v_cndmask_b32_e32 v17, v18, v17, vcc_lo
	v_add_co_u32 v6, vcc_lo, v6, s3
	v_or_b32_e32 v18, 0x1000, v4
	v_med3_i32 v21, v21, 0, 13
	v_and_b32_e32 v14, 7, v17
	v_mul_f64 v[0:1], v[8:9], s[6:7]
	v_mul_f16_sdwa v9, v44, v12 dst_sel:DWORD dst_unused:UNUSED_PAD src0_sel:WORD_1 src1_sel:DWORD
	v_add_co_ci_u32_e32 v7, vcc_lo, s2, v7, vcc_lo
	v_lshrrev_b32_e32 v15, v21, v18
	v_cmp_lt_i32_e32 vcc_lo, 5, v14
	v_cmp_eq_u32_e64 s0, 3, v14
	v_lshrrev_b32_e32 v12, 2, v17
	v_fma_f16 v9, v44, v10, -v9
	v_lshlrev_b32_e32 v8, v21, v15
	v_add_nc_u32_e32 v10, 0xfffffc10, v22
	s_or_b32 vcc_lo, s0, vcc_lo
	v_lshrrev_b32_e32 v21, 16, v3
	v_add_co_ci_u32_e32 v12, vcc_lo, 0, v12, vcc_lo
	v_cmp_ne_u32_e64 s1, v8, v18
	v_cvt_f32_f16_e32 v9, v9
	v_cmp_ne_u32_e32 vcc_lo, 0, v2
	global_store_dword v[6:7], v11, off
	v_cndmask_b32_e64 v8, 0, 1, s1
	v_cndmask_b32_e64 v2, 0, 1, vcc_lo
	v_cmp_gt_i32_e32 vcc_lo, 1, v10
	v_and_or_b32 v0, 0x1ff, v1, v0
	v_or_b32_e32 v14, v15, v8
	v_lshl_or_b32 v15, v10, 12, v4
	v_cvt_f64_f32_e32 v[8:9], v9
	v_lshl_or_b32 v2, v2, 9, 0x7c00
	v_lshrrev_b32_e32 v16, 8, v1
	v_bfe_u32 v17, v1, 20, 11
	v_cndmask_b32_e32 v14, v15, v14, vcc_lo
	v_cmp_gt_i32_e32 vcc_lo, 31, v20
	v_and_b32_e32 v15, 7, v14
	v_cndmask_b32_e32 v12, 0x7c00, v12, vcc_lo
	v_cmp_ne_u32_e32 vcc_lo, 0, v0
	v_lshrrev_b32_e32 v14, 2, v14
	v_cmp_eq_u32_e64 s0, 3, v15
	v_cndmask_b32_e64 v0, 0, 1, vcc_lo
	v_cmp_eq_u32_e32 vcc_lo, 0x40f, v20
	v_and_or_b32 v0, 0xffe, v16, v0
	v_cndmask_b32_e32 v12, v12, v2, vcc_lo
	v_cmp_lt_i32_e32 vcc_lo, 5, v15
	v_lshrrev_b32_e32 v15, 16, v13
	v_mul_f64 v[8:9], v[8:9], s[6:7]
	v_sub_nc_u32_e32 v2, 0x3f1, v17
	v_or_b32_e32 v16, 0x1000, v0
	s_or_b32 vcc_lo, s0, vcc_lo
	v_mul_f16_sdwa v18, v43, v15 dst_sel:DWORD dst_unused:UNUSED_PAD src0_sel:WORD_1 src1_sel:DWORD
	v_add_co_ci_u32_e32 v14, vcc_lo, 0, v14, vcc_lo
	v_med3_i32 v2, v2, 0, 13
	v_cmp_ne_u32_e32 vcc_lo, 0, v4
	v_fmac_f16_e32 v18, v43, v13
	v_and_or_b32 v12, 0x8000, v21, v12
	v_lshrrev_b32_e32 v20, v2, v16
	v_cndmask_b32_e64 v4, 0, 1, vcc_lo
	v_cmp_gt_i32_e32 vcc_lo, 31, v10
	v_cvt_f32_f16_e32 v3, v18
	v_and_b32_e32 v12, 0xffff, v12
	v_lshlrev_b32_e32 v18, v2, v20
	v_lshl_or_b32 v4, v4, 9, 0x7c00
	v_cndmask_b32_e32 v14, 0x7c00, v14, vcc_lo
	v_cmp_eq_u32_e32 vcc_lo, 0x40f, v10
	v_cvt_f64_f32_e32 v[2:3], v3
	v_and_or_b32 v8, 0x1ff, v9, v8
	v_cndmask_b32_e32 v4, v14, v4, vcc_lo
	v_cmp_ne_u32_e32 vcc_lo, v18, v16
	v_add_nc_u32_e32 v14, 0xfffffc10, v17
	v_lshrrev_b32_e32 v16, 8, v9
	v_bfe_u32 v17, v9, 20, 11
	v_and_or_b32 v4, 0x8000, v5, v4
	v_cndmask_b32_e64 v10, 0, 1, vcc_lo
	v_cmp_ne_u32_e32 vcc_lo, 0, v8
	v_lshrrev_b32_e32 v9, 16, v9
	v_lshl_or_b32 v11, v4, 16, v12
	v_or_b32_e32 v5, v20, v10
	v_lshl_or_b32 v10, v14, 12, v0
	v_cndmask_b32_e64 v8, 0, 1, vcc_lo
	v_cmp_gt_i32_e32 vcc_lo, 1, v14
	v_and_or_b32 v8, 0xffe, v16, v8
	v_cndmask_b32_e32 v10, v10, v5, vcc_lo
	v_sub_nc_u32_e32 v5, 0x3f1, v17
	v_mul_f64 v[2:3], v[2:3], s[6:7]
	v_add_co_u32 v4, vcc_lo, v6, s3
	v_or_b32_e32 v16, 0x1000, v8
	v_med3_i32 v18, v5, 0, 13
	v_and_b32_e32 v12, 7, v10
	v_add_co_ci_u32_e32 v5, vcc_lo, s2, v7, vcc_lo
	v_lshrrev_b32_e32 v7, 2, v10
	v_lshrrev_b32_e32 v20, v18, v16
	v_cmp_lt_i32_e32 vcc_lo, 5, v12
	v_cmp_eq_u32_e64 s0, 3, v12
	v_mul_f16_sdwa v6, v43, v13 dst_sel:DWORD dst_unused:UNUSED_PAD src0_sel:WORD_1 src1_sel:DWORD
	global_store_dword v[4:5], v11, off
	v_lshlrev_b32_e32 v10, v18, v20
	s_or_b32 vcc_lo, s0, vcc_lo
	v_fma_f16 v11, v43, v15, -v6
	v_add_co_ci_u32_e32 v12, vcc_lo, 0, v7, vcc_lo
	v_cmp_ne_u32_e32 vcc_lo, v10, v16
	ds_read2_b32 v[6:7], v19 offset0:184 offset1:252
	v_and_or_b32 v2, 0x1ff, v3, v2
	v_cvt_f32_f16_e32 v10, v11
	v_add_nc_u32_e32 v15, 0xfffffc10, v17
	v_cndmask_b32_e64 v13, 0, 1, vcc_lo
	v_cmp_gt_i32_e32 vcc_lo, 31, v14
	v_lshrrev_b32_e32 v17, 8, v3
	v_cvt_f64_f32_e32 v[10:11], v10
	v_lshl_or_b32 v16, v15, 12, v8
	v_or_b32_e32 v13, v20, v13
	v_cndmask_b32_e32 v12, 0x7c00, v12, vcc_lo
	v_cmp_ne_u32_e32 vcc_lo, 0, v2
	v_bfe_u32 v18, v3, 20, 11
	v_cndmask_b32_e64 v2, 0, 1, vcc_lo
	v_cmp_ne_u32_e32 vcc_lo, 0, v0
	v_and_or_b32 v2, 0xffe, v17, v2
	v_cndmask_b32_e64 v0, 0, 1, vcc_lo
	v_cmp_gt_i32_e32 vcc_lo, 1, v15
	s_waitcnt lgkmcnt(0)
	v_lshrrev_b32_e32 v17, 16, v6
	v_or_b32_e32 v20, 0x1000, v2
	v_lshl_or_b32 v0, v0, 9, 0x7c00
	v_cndmask_b32_e32 v13, v16, v13, vcc_lo
	v_sub_nc_u32_e32 v16, 0x3f1, v18
	v_cmp_eq_u32_e32 vcc_lo, 0x40f, v14
	v_mul_f16_sdwa v21, v41, v17 dst_sel:DWORD dst_unused:UNUSED_PAD src0_sel:WORD_1 src1_sel:DWORD
	v_mul_f64 v[10:11], v[10:11], s[6:7]
	v_and_b32_e32 v19, 7, v13
	v_med3_i32 v16, v16, 0, 13
	v_cndmask_b32_e32 v12, v12, v0, vcc_lo
	v_lshrrev_b32_e32 v0, 2, v13
	v_fmac_f16_e32 v21, v41, v6
	v_cmp_lt_i32_e32 vcc_lo, 5, v19
	v_cmp_eq_u32_e64 s0, 3, v19
	v_lshrrev_b32_e32 v14, v16, v20
	v_lshrrev_b32_e32 v19, 16, v1
	v_cvt_f32_f16_e32 v1, v21
	v_add_nc_u32_e32 v18, 0xfffffc10, v18
	s_or_b32 vcc_lo, s0, vcc_lo
	v_lshlrev_b32_e32 v13, v16, v14
	v_add_co_ci_u32_e32 v16, vcc_lo, 0, v0, vcc_lo
	v_cmp_ne_u32_e32 vcc_lo, 0, v8
	v_cvt_f64_f32_e32 v[0:1], v1
	v_and_or_b32 v12, 0x8000, v19, v12
	v_mul_f16_sdwa v6, v41, v6 dst_sel:DWORD dst_unused:UNUSED_PAD src0_sel:WORD_1 src1_sel:DWORD
	v_lshrrev_b32_e32 v21, 16, v7
	v_cndmask_b32_e64 v8, 0, 1, vcc_lo
	v_cmp_ne_u32_e32 vcc_lo, v13, v20
	v_and_or_b32 v10, 0x1ff, v11, v10
	v_and_b32_e32 v12, 0xffff, v12
	v_fma_f16 v6, v41, v17, -v6
	v_lshl_or_b32 v8, v8, 9, 0x7c00
	v_cndmask_b32_e64 v13, 0, 1, vcc_lo
	v_cmp_gt_i32_e32 vcc_lo, 31, v15
	v_cvt_f32_f16_e32 v6, v6
	v_or_b32_e32 v13, v14, v13
	v_cndmask_b32_e32 v16, 0x7c00, v16, vcc_lo
	v_cmp_eq_u32_e32 vcc_lo, 0x40f, v15
	v_lshl_or_b32 v14, v18, 12, v2
	v_bfe_u32 v15, v11, 20, 11
	v_cndmask_b32_e32 v8, v16, v8, vcc_lo
	v_cmp_gt_i32_e32 vcc_lo, 1, v18
	v_mul_f64 v[0:1], v[0:1], s[6:7]
	v_and_or_b32 v8, 0x8000, v9, v8
	v_cndmask_b32_e32 v13, v14, v13, vcc_lo
	v_cmp_ne_u32_e32 vcc_lo, 0, v10
	v_lshrrev_b32_e32 v14, 8, v11
	v_lshrrev_b32_e32 v11, 16, v11
	v_lshl_or_b32 v12, v8, 16, v12
	v_and_b32_e32 v16, 7, v13
	v_cndmask_b32_e64 v10, 0, 1, vcc_lo
	v_lshrrev_b32_e32 v13, 2, v13
	v_cmp_lt_i32_e32 vcc_lo, 5, v16
	v_and_or_b32 v10, 0xffe, v14, v10
	v_sub_nc_u32_e32 v14, 0x3f1, v15
	v_cmp_eq_u32_e64 s0, 3, v16
	v_or_b32_e32 v9, 0x1000, v10
	v_med3_i32 v14, v14, 0, 13
	s_or_b32 vcc_lo, s0, vcc_lo
	v_and_or_b32 v0, 0x1ff, v1, v0
	v_add_co_ci_u32_e32 v13, vcc_lo, 0, v13, vcc_lo
	v_lshrrev_b32_e32 v16, v14, v9
	v_cmp_gt_i32_e32 vcc_lo, 31, v18
	v_bfe_u32 v17, v1, 20, 11
	v_lshlrev_b32_e32 v8, v14, v16
	v_cndmask_b32_e32 v13, 0x7c00, v13, vcc_lo
	v_cmp_ne_u32_e32 vcc_lo, v8, v9
	v_cvt_f64_f32_e32 v[8:9], v6
	v_add_nc_u32_e32 v6, 0xfffffc10, v15
	v_lshrrev_b32_e32 v15, 8, v1
	v_cndmask_b32_e64 v14, 0, 1, vcc_lo
	v_cmp_ne_u32_e32 vcc_lo, 0, v0
	v_or_b32_e32 v14, v16, v14
	v_cndmask_b32_e64 v0, 0, 1, vcc_lo
	v_cmp_ne_u32_e32 vcc_lo, 0, v2
	v_lshl_or_b32 v16, v6, 12, v10
	v_and_or_b32 v0, 0xffe, v15, v0
	v_cndmask_b32_e64 v2, 0, 1, vcc_lo
	v_cmp_gt_i32_e32 vcc_lo, 1, v6
	v_sub_nc_u32_e32 v15, 0x3f1, v17
	v_lshl_or_b32 v2, v2, 9, 0x7c00
	v_cndmask_b32_e32 v14, v16, v14, vcc_lo
	v_cmp_eq_u32_e32 vcc_lo, 0x40f, v18
	v_or_b32_e32 v16, 0x1000, v0
	v_med3_i32 v15, v15, 0, 13
	v_lshrrev_b32_e32 v18, 16, v3
	v_and_b32_e32 v19, 7, v14
	v_cndmask_b32_e32 v13, v13, v2, vcc_lo
	v_mul_f64 v[2:3], v[8:9], s[6:7]
	v_lshrrev_b32_e32 v20, v15, v16
	v_add_co_u32 v4, vcc_lo, v4, s3
	v_add_co_ci_u32_e32 v5, vcc_lo, s2, v5, vcc_lo
	v_lshlrev_b32_e32 v9, v15, v20
	v_mul_f16_sdwa v8, v40, v21 dst_sel:DWORD dst_unused:UNUSED_PAD src0_sel:WORD_1 src1_sel:DWORD
	v_cmp_lt_i32_e32 vcc_lo, 5, v19
	v_cmp_eq_u32_e64 s0, 3, v19
	v_lshrrev_b32_e32 v14, 2, v14
	v_cmp_ne_u32_e64 s1, v9, v16
	v_fmac_f16_e32 v8, v40, v7
	v_add_nc_u32_e32 v15, 0xfffffc10, v17
	s_or_b32 vcc_lo, s0, vcc_lo
	v_and_or_b32 v13, 0x8000, v18, v13
	v_add_co_ci_u32_e32 v14, vcc_lo, 0, v14, vcc_lo
	v_cndmask_b32_e64 v9, 0, 1, s1
	v_cmp_ne_u32_e32 vcc_lo, 0, v10
	v_cvt_f32_f16_e32 v8, v8
	v_lshl_or_b32 v17, v15, 12, v0
	v_and_or_b32 v2, 0x1ff, v3, v2
	v_or_b32_e32 v16, v20, v9
	v_cndmask_b32_e64 v10, 0, 1, vcc_lo
	v_cmp_gt_i32_e32 vcc_lo, 1, v15
	v_cvt_f64_f32_e32 v[8:9], v8
	v_bfe_u32 v18, v3, 20, 11
	v_and_b32_e32 v13, 0xffff, v13
	v_lshl_or_b32 v10, v10, 9, 0x7c00
	v_cndmask_b32_e32 v16, v17, v16, vcc_lo
	v_cmp_ne_u32_e32 vcc_lo, 0, v2
	v_lshrrev_b32_e32 v17, 8, v3
	v_mul_f16_sdwa v7, v40, v7 dst_sel:DWORD dst_unused:UNUSED_PAD src0_sel:WORD_1 src1_sel:DWORD
	v_and_b32_e32 v19, 7, v16
	v_cndmask_b32_e64 v2, 0, 1, vcc_lo
	v_cmp_gt_i32_e32 vcc_lo, 31, v6
	v_fma_f16 v7, v40, v21, -v7
	v_cmp_eq_u32_e64 s0, 3, v19
	v_and_or_b32 v2, 0xffe, v17, v2
	v_cndmask_b32_e32 v14, 0x7c00, v14, vcc_lo
	v_cmp_eq_u32_e32 vcc_lo, 0x40f, v6
	ds_read_b32 v17, v42 offset:4352
	v_cndmask_b32_e32 v6, v14, v10, vcc_lo
	v_sub_nc_u32_e32 v10, 0x3f1, v18
	v_cmp_lt_i32_e32 vcc_lo, 5, v19
	v_mul_f64 v[8:9], v[8:9], s[6:7]
	v_or_b32_e32 v14, 0x1000, v2
	v_and_or_b32 v6, 0x8000, v11, v6
	v_lshrrev_b32_e32 v11, 2, v16
	v_med3_i32 v10, v10, 0, 13
	s_or_b32 vcc_lo, s0, vcc_lo
	v_lshl_or_b32 v13, v6, 16, v13
	v_add_co_ci_u32_e32 v11, vcc_lo, 0, v11, vcc_lo
	v_lshrrev_b32_e32 v16, v10, v14
	v_cmp_ne_u32_e32 vcc_lo, 0, v0
	v_lshlrev_b32_e32 v6, v10, v16
	v_cndmask_b32_e64 v0, 0, 1, vcc_lo
	v_cmp_gt_i32_e32 vcc_lo, 31, v15
	v_lshl_or_b32 v0, v0, 9, 0x7c00
	v_cndmask_b32_e32 v10, 0x7c00, v11, vcc_lo
	v_cmp_ne_u32_e32 vcc_lo, v6, v14
	v_and_or_b32 v8, 0x1ff, v9, v8
	v_add_nc_u32_e32 v14, 0xfffffc10, v18
	v_lshrrev_b32_e32 v18, 16, v1
	v_cndmask_b32_e64 v6, 0, 1, vcc_lo
	v_cmp_eq_u32_e32 vcc_lo, 0x40f, v15
	v_lshl_or_b32 v11, v14, 12, v2
	v_lshrrev_b32_e32 v15, 8, v9
	v_cndmask_b32_e32 v10, v10, v0, vcc_lo
	v_cmp_ne_u32_e32 vcc_lo, 0, v8
	v_or_b32_e32 v0, v16, v6
	v_cvt_f32_f16_e32 v6, v7
	v_bfe_u32 v16, v9, 20, 11
	v_and_or_b32 v18, 0x8000, v18, v10
	v_cndmask_b32_e64 v8, 0, 1, vcc_lo
	v_cmp_gt_i32_e32 vcc_lo, 1, v14
	v_cvt_f64_f32_e32 v[6:7], v6
	v_lshrrev_b32_e32 v9, 16, v9
	v_and_or_b32 v8, 0xffe, v15, v8
	v_cndmask_b32_e32 v11, v11, v0, vcc_lo
	v_sub_nc_u32_e32 v0, 0x3f1, v16
	s_waitcnt lgkmcnt(0)
	v_lshrrev_b32_e32 v15, 16, v17
	v_add_nc_u32_e32 v16, 0xfffffc10, v16
	v_or_b32_e32 v20, 0x1000, v8
	v_and_b32_e32 v19, 7, v11
	v_med3_i32 v21, v0, 0, 13
	v_mul_f16_sdwa v22, v39, v15 dst_sel:DWORD dst_unused:UNUSED_PAD src0_sel:WORD_1 src1_sel:DWORD
	v_add_co_u32 v0, vcc_lo, v4, s3
	v_add_co_ci_u32_e32 v1, vcc_lo, s2, v5, vcc_lo
	v_lshrrev_b32_e32 v23, v21, v20
	v_fmac_f16_e32 v22, v39, v17
	v_cmp_lt_i32_e32 vcc_lo, 5, v19
	v_cmp_eq_u32_e64 s0, 3, v19
	v_lshrrev_b32_e32 v10, 2, v11
	v_lshlrev_b32_e32 v19, v21, v23
	v_cvt_f32_f16_e32 v11, v22
	v_mul_f64 v[6:7], v[6:7], s[6:7]
	s_or_b32 vcc_lo, s0, vcc_lo
	v_mul_f16_sdwa v17, v39, v17 dst_sel:DWORD dst_unused:UNUSED_PAD src0_sel:WORD_1 src1_sel:DWORD
	v_add_co_ci_u32_e32 v21, vcc_lo, 0, v10, vcc_lo
	v_cmp_ne_u32_e32 vcc_lo, v19, v20
	v_cvt_f64_f32_e32 v[10:11], v11
	v_lshl_or_b32 v20, v16, 12, v8
	v_fma_f16 v15, v39, v15, -v17
	v_cndmask_b32_e64 v19, 0, 1, vcc_lo
	v_cmp_ne_u32_e32 vcc_lo, 0, v2
	v_cvt_f32_f16_e32 v15, v15
	v_or_b32_e32 v19, v23, v19
	v_cndmask_b32_e64 v2, 0, 1, vcc_lo
	v_cmp_gt_i32_e32 vcc_lo, 31, v14
	v_lshl_or_b32 v2, v2, 9, 0x7c00
	v_cndmask_b32_e32 v17, 0x7c00, v21, vcc_lo
	v_cmp_gt_i32_e32 vcc_lo, 1, v16
	v_and_or_b32 v6, 0x1ff, v7, v6
	v_bfe_u32 v21, v7, 20, 11
	v_cndmask_b32_e32 v19, v20, v19, vcc_lo
	v_cmp_eq_u32_e32 vcc_lo, 0x40f, v14
	v_mul_f64 v[10:11], v[10:11], s[6:7]
	v_lshrrev_b32_e32 v20, 8, v7
	v_lshrrev_b32_e32 v7, 16, v7
	v_cndmask_b32_e32 v14, v17, v2, vcc_lo
	v_lshrrev_b32_e32 v17, 16, v3
	v_cvt_f64_f32_e32 v[2:3], v15
	v_cmp_ne_u32_e32 vcc_lo, 0, v6
	v_and_b32_e32 v15, 7, v19
	v_and_or_b32 v14, 0x8000, v17, v14
	v_and_b32_e32 v17, 0xffff, v18
	v_cndmask_b32_e64 v6, 0, 1, vcc_lo
	v_cmp_lt_i32_e32 vcc_lo, 5, v15
	v_cmp_eq_u32_e64 s0, 3, v15
	v_lshrrev_b32_e32 v15, 2, v19
	v_sub_nc_u32_e32 v18, 0x3f1, v21
	v_and_or_b32 v6, 0xffe, v20, v6
	v_lshl_or_b32 v14, v14, 16, v17
	s_or_b32 vcc_lo, s0, vcc_lo
	v_add_co_ci_u32_e32 v15, vcc_lo, 0, v15, vcc_lo
	v_or_b32_e32 v17, 0x1000, v6
	v_med3_i32 v18, v18, 0, 13
	v_cmp_ne_u32_e32 vcc_lo, 0, v8
	v_and_or_b32 v10, 0x1ff, v11, v10
	v_lshrrev_b32_e32 v20, 8, v11
	v_mul_f64 v[2:3], v[2:3], s[6:7]
	v_lshrrev_b32_e32 v19, v18, v17
	v_cndmask_b32_e64 v8, 0, 1, vcc_lo
	v_cmp_gt_i32_e32 vcc_lo, 31, v16
	v_bfe_u32 v22, v11, 20, 11
	v_lshrrev_b32_e32 v11, 16, v11
	v_lshlrev_b32_e32 v18, v18, v19
	v_lshl_or_b32 v8, v8, 9, 0x7c00
	v_cndmask_b32_e32 v15, 0x7c00, v15, vcc_lo
	v_cmp_ne_u32_e32 vcc_lo, 0, v10
	v_cndmask_b32_e64 v10, 0, 1, vcc_lo
	v_cmp_ne_u32_e32 vcc_lo, v18, v17
	v_add_nc_u32_e32 v18, 0xfffffc10, v21
	v_and_or_b32 v10, 0xffe, v20, v10
	v_cndmask_b32_e64 v17, 0, 1, vcc_lo
	v_sub_nc_u32_e32 v20, 0x3f1, v22
	v_cmp_eq_u32_e32 vcc_lo, 0x40f, v16
	v_lshl_or_b32 v16, v18, 12, v6
	v_and_or_b32 v2, 0x1ff, v3, v2
	v_bfe_u32 v21, v3, 20, 11
	v_cndmask_b32_e32 v8, v15, v8, vcc_lo
	v_or_b32_e32 v15, v19, v17
	v_or_b32_e32 v17, 0x1000, v10
	v_med3_i32 v19, v20, 0, 13
	v_cmp_gt_i32_e32 vcc_lo, 1, v18
	v_lshrrev_b32_e32 v20, 8, v3
	v_and_or_b32 v8, 0x8000, v9, v8
	v_sub_nc_u32_e32 v9, 0x3f1, v21
	v_cndmask_b32_e32 v15, v16, v15, vcc_lo
	v_lshrrev_b32_e32 v16, v19, v17
	v_cmp_ne_u32_e32 vcc_lo, 0, v2
	v_med3_i32 v9, v9, 0, 13
	v_and_b32_e32 v23, 7, v15
	v_lshlrev_b32_e32 v19, v19, v16
	v_cndmask_b32_e64 v2, 0, 1, vcc_lo
	v_lshrrev_b32_e32 v15, 2, v15
	v_cmp_lt_i32_e32 vcc_lo, 5, v23
	v_cmp_ne_u32_e64 s0, v19, v17
	v_and_or_b32 v2, 0xffe, v20, v2
	v_add_nc_u32_e32 v20, 0xfffffc10, v22
	v_cndmask_b32_e64 v17, 0, 1, s0
	v_cmp_eq_u32_e64 s0, 3, v23
	v_or_b32_e32 v19, 0x1000, v2
	v_lshl_or_b32 v22, v20, 12, v10
	v_or_b32_e32 v16, v16, v17
	s_or_b32 vcc_lo, s0, vcc_lo
	v_lshrrev_b32_e32 v17, v9, v19
	v_add_co_ci_u32_e32 v15, vcc_lo, 0, v15, vcc_lo
	v_cmp_gt_i32_e32 vcc_lo, 1, v20
	v_lshlrev_b32_e32 v9, v9, v17
	v_cndmask_b32_e32 v16, v22, v16, vcc_lo
	v_cmp_ne_u32_e32 vcc_lo, 0, v6
	v_cndmask_b32_e64 v6, 0, 1, vcc_lo
	v_cmp_ne_u32_e32 vcc_lo, v9, v19
	v_add_nc_u32_e32 v19, 0xfffffc10, v21
	v_and_b32_e32 v21, 7, v16
	v_lshl_or_b32 v6, v6, 9, 0x7c00
	v_cndmask_b32_e64 v9, 0, 1, vcc_lo
	v_cmp_gt_i32_e32 vcc_lo, 31, v18
	v_cmp_gt_i32_e64 s1, 1, v19
	v_cmp_eq_u32_e64 s0, 3, v21
	v_or_b32_e32 v9, v17, v9
	v_lshl_or_b32 v17, v19, 12, v2
	v_cndmask_b32_e32 v15, 0x7c00, v15, vcc_lo
	v_cmp_lt_i32_e32 vcc_lo, 5, v21
	v_cndmask_b32_e64 v9, v17, v9, s1
	v_cmp_eq_u32_e64 s1, 0x40f, v18
	s_or_b32 vcc_lo, s0, vcc_lo
	v_cndmask_b32_e64 v6, v15, v6, s1
	v_lshrrev_b32_e32 v15, 2, v16
	v_and_b32_e32 v16, 7, v9
	v_lshrrev_b32_e32 v9, 2, v9
	v_cmp_gt_i32_e64 s1, 31, v20
	v_and_or_b32 v6, 0x8000, v7, v6
	v_add_co_ci_u32_e32 v15, vcc_lo, 0, v15, vcc_lo
	v_cmp_ne_u32_e32 vcc_lo, 0, v10
	v_cmp_eq_u32_e64 s0, 3, v16
	v_and_b32_e32 v7, 0xffff, v8
	v_cndmask_b32_e64 v15, 0x7c00, v15, s1
	v_cndmask_b32_e64 v10, 0, 1, vcc_lo
	v_cmp_lt_i32_e32 vcc_lo, 5, v16
	v_lshl_or_b32 v10, v10, 9, 0x7c00
	s_or_b32 vcc_lo, s0, vcc_lo
	v_add_co_ci_u32_e32 v9, vcc_lo, 0, v9, vcc_lo
	v_cmp_ne_u32_e32 vcc_lo, 0, v2
	v_cndmask_b32_e64 v2, 0, 1, vcc_lo
	v_cmp_eq_u32_e32 vcc_lo, 0x40f, v20
	v_lshl_or_b32 v2, v2, 9, 0x7c00
	v_cndmask_b32_e32 v10, v15, v10, vcc_lo
	v_cmp_gt_i32_e32 vcc_lo, 31, v19
	v_and_or_b32 v8, 0x8000, v11, v10
	v_cndmask_b32_e32 v9, 0x7c00, v9, vcc_lo
	v_cmp_eq_u32_e32 vcc_lo, 0x40f, v19
	v_lshrrev_b32_e32 v10, 16, v3
	v_lshl_or_b32 v11, v6, 16, v7
	v_and_b32_e32 v8, 0xffff, v8
	v_cndmask_b32_e32 v9, v9, v2, vcc_lo
	v_add_co_u32 v2, vcc_lo, v0, s3
	v_add_co_ci_u32_e32 v3, vcc_lo, s2, v1, vcc_lo
	v_and_or_b32 v9, 0x8000, v10, v9
	v_add_co_u32 v6, vcc_lo, v2, s3
	v_add_co_ci_u32_e32 v7, vcc_lo, s2, v3, vcc_lo
	v_lshl_or_b32 v10, v9, 16, v8
	v_add_co_u32 v8, vcc_lo, v6, s3
	v_add_co_ci_u32_e32 v9, vcc_lo, s2, v7, vcc_lo
	global_store_dword v[4:5], v12, off
	global_store_dword v[0:1], v13, off
	;; [unrolled: 1-line block ×5, first 2 shown]
.LBB0_18:
	s_endpgm
	.section	.rodata,"a",@progbits
	.p2align	6, 0x0
	.amdhsa_kernel bluestein_single_back_len1156_dim1_half_op_CI_CI
		.amdhsa_group_segment_fixed_size 13872
		.amdhsa_private_segment_fixed_size 0
		.amdhsa_kernarg_size 104
		.amdhsa_user_sgpr_count 6
		.amdhsa_user_sgpr_private_segment_buffer 1
		.amdhsa_user_sgpr_dispatch_ptr 0
		.amdhsa_user_sgpr_queue_ptr 0
		.amdhsa_user_sgpr_kernarg_segment_ptr 1
		.amdhsa_user_sgpr_dispatch_id 0
		.amdhsa_user_sgpr_flat_scratch_init 0
		.amdhsa_user_sgpr_private_segment_size 0
		.amdhsa_wavefront_size32 1
		.amdhsa_uses_dynamic_stack 0
		.amdhsa_system_sgpr_private_segment_wavefront_offset 0
		.amdhsa_system_sgpr_workgroup_id_x 1
		.amdhsa_system_sgpr_workgroup_id_y 0
		.amdhsa_system_sgpr_workgroup_id_z 0
		.amdhsa_system_sgpr_workgroup_info 0
		.amdhsa_system_vgpr_workitem_id 0
		.amdhsa_next_free_vgpr 216
		.amdhsa_next_free_sgpr 20
		.amdhsa_reserve_vcc 1
		.amdhsa_reserve_flat_scratch 0
		.amdhsa_float_round_mode_32 0
		.amdhsa_float_round_mode_16_64 0
		.amdhsa_float_denorm_mode_32 3
		.amdhsa_float_denorm_mode_16_64 3
		.amdhsa_dx10_clamp 1
		.amdhsa_ieee_mode 1
		.amdhsa_fp16_overflow 0
		.amdhsa_workgroup_processor_mode 1
		.amdhsa_memory_ordered 1
		.amdhsa_forward_progress 0
		.amdhsa_shared_vgpr_count 0
		.amdhsa_exception_fp_ieee_invalid_op 0
		.amdhsa_exception_fp_denorm_src 0
		.amdhsa_exception_fp_ieee_div_zero 0
		.amdhsa_exception_fp_ieee_overflow 0
		.amdhsa_exception_fp_ieee_underflow 0
		.amdhsa_exception_fp_ieee_inexact 0
		.amdhsa_exception_int_div_zero 0
	.end_amdhsa_kernel
	.text
.Lfunc_end0:
	.size	bluestein_single_back_len1156_dim1_half_op_CI_CI, .Lfunc_end0-bluestein_single_back_len1156_dim1_half_op_CI_CI
                                        ; -- End function
	.section	.AMDGPU.csdata,"",@progbits
; Kernel info:
; codeLenInByte = 38908
; NumSgprs: 22
; NumVgprs: 216
; ScratchSize: 0
; MemoryBound: 0
; FloatMode: 240
; IeeeMode: 1
; LDSByteSize: 13872 bytes/workgroup (compile time only)
; SGPRBlocks: 2
; VGPRBlocks: 26
; NumSGPRsForWavesPerEU: 22
; NumVGPRsForWavesPerEU: 216
; Occupancy: 4
; WaveLimiterHint : 1
; COMPUTE_PGM_RSRC2:SCRATCH_EN: 0
; COMPUTE_PGM_RSRC2:USER_SGPR: 6
; COMPUTE_PGM_RSRC2:TRAP_HANDLER: 0
; COMPUTE_PGM_RSRC2:TGID_X_EN: 1
; COMPUTE_PGM_RSRC2:TGID_Y_EN: 0
; COMPUTE_PGM_RSRC2:TGID_Z_EN: 0
; COMPUTE_PGM_RSRC2:TIDIG_COMP_CNT: 0
	.text
	.p2alignl 6, 3214868480
	.fill 48, 4, 3214868480
	.type	__hip_cuid_902d816636298dab,@object ; @__hip_cuid_902d816636298dab
	.section	.bss,"aw",@nobits
	.globl	__hip_cuid_902d816636298dab
__hip_cuid_902d816636298dab:
	.byte	0                               ; 0x0
	.size	__hip_cuid_902d816636298dab, 1

	.ident	"AMD clang version 19.0.0git (https://github.com/RadeonOpenCompute/llvm-project roc-6.4.0 25133 c7fe45cf4b819c5991fe208aaa96edf142730f1d)"
	.section	".note.GNU-stack","",@progbits
	.addrsig
	.addrsig_sym __hip_cuid_902d816636298dab
	.amdgpu_metadata
---
amdhsa.kernels:
  - .args:
      - .actual_access:  read_only
        .address_space:  global
        .offset:         0
        .size:           8
        .value_kind:     global_buffer
      - .actual_access:  read_only
        .address_space:  global
        .offset:         8
        .size:           8
        .value_kind:     global_buffer
      - .actual_access:  read_only
        .address_space:  global
        .offset:         16
        .size:           8
        .value_kind:     global_buffer
      - .actual_access:  read_only
        .address_space:  global
        .offset:         24
        .size:           8
        .value_kind:     global_buffer
      - .actual_access:  read_only
        .address_space:  global
        .offset:         32
        .size:           8
        .value_kind:     global_buffer
      - .offset:         40
        .size:           8
        .value_kind:     by_value
      - .address_space:  global
        .offset:         48
        .size:           8
        .value_kind:     global_buffer
      - .address_space:  global
        .offset:         56
        .size:           8
        .value_kind:     global_buffer
      - .address_space:  global
        .offset:         64
        .size:           8
        .value_kind:     global_buffer
      - .address_space:  global
        .offset:         72
        .size:           8
        .value_kind:     global_buffer
      - .offset:         80
        .size:           4
        .value_kind:     by_value
      - .address_space:  global
        .offset:         88
        .size:           8
        .value_kind:     global_buffer
      - .address_space:  global
        .offset:         96
        .size:           8
        .value_kind:     global_buffer
    .group_segment_fixed_size: 13872
    .kernarg_segment_align: 8
    .kernarg_segment_size: 104
    .language:       OpenCL C
    .language_version:
      - 2
      - 0
    .max_flat_workgroup_size: 204
    .name:           bluestein_single_back_len1156_dim1_half_op_CI_CI
    .private_segment_fixed_size: 0
    .sgpr_count:     22
    .sgpr_spill_count: 0
    .symbol:         bluestein_single_back_len1156_dim1_half_op_CI_CI.kd
    .uniform_work_group_size: 1
    .uses_dynamic_stack: false
    .vgpr_count:     216
    .vgpr_spill_count: 0
    .wavefront_size: 32
    .workgroup_processor_mode: 1
amdhsa.target:   amdgcn-amd-amdhsa--gfx1030
amdhsa.version:
  - 1
  - 2
...

	.end_amdgpu_metadata
